;; amdgpu-corpus repo=ROCm/rocBLAS kind=compiled arch=gfx1030 opt=O3
	.amdgcn_target "amdgcn-amd-amdhsa--gfx1030"
	.amdhsa_code_object_version 6
	.section	.text._ZL18rocblas_trtri_fillILi128EfPfEvP15_rocblas_handle13rocblas_fill_ililT1_llii,"axG",@progbits,_ZL18rocblas_trtri_fillILi128EfPfEvP15_rocblas_handle13rocblas_fill_ililT1_llii,comdat
	.globl	_ZL18rocblas_trtri_fillILi128EfPfEvP15_rocblas_handle13rocblas_fill_ililT1_llii ; -- Begin function _ZL18rocblas_trtri_fillILi128EfPfEvP15_rocblas_handle13rocblas_fill_ililT1_llii
	.p2align	8
	.type	_ZL18rocblas_trtri_fillILi128EfPfEvP15_rocblas_handle13rocblas_fill_ililT1_llii,@function
_ZL18rocblas_trtri_fillILi128EfPfEvP15_rocblas_handle13rocblas_fill_ililT1_llii: ; @_ZL18rocblas_trtri_fillILi128EfPfEvP15_rocblas_handle13rocblas_fill_ililT1_llii
; %bb.0:
	s_clause 0x1
	s_load_dword s1, s[4:5], 0x40
	s_load_dwordx2 s[2:3], s[4:5], 0x10
	s_mov_b32 s0, s7
	s_mov_b32 s7, 0
	s_lshl_b64 s[8:9], s[6:7], 7
	v_or_b32_e32 v0, s8, v0
	v_mov_b32_e32 v1, s9
	s_waitcnt lgkmcnt(0)
	s_ashr_i32 s6, s1, 31
	s_mul_hi_u32 s8, s2, s1
	s_mul_i32 s6, s2, s6
	s_mul_i32 s9, s3, s1
	s_add_i32 s6, s8, s6
	s_mul_i32 s16, s2, s1
	s_add_i32 s17, s6, s9
	s_mov_b32 s1, exec_lo
	v_cmpx_gt_u64_e64 s[16:17], v[0:1]
	s_cbranch_execz .LBB0_14
; %bb.1:
	s_clause 0x2
	s_load_dwordx8 s[8:15], s[4:5], 0x20
	s_load_dword s18, s[4:5], 0x18
	s_load_dwordx2 s[20:21], s[4:5], 0x8
	v_cvt_f32_u32_e32 v2, s2
	v_cvt_f32_u32_e32 v3, s2
	;; [unrolled: 1-line block ×3, first 2 shown]
	s_clause 0x1
	s_load_dword s22, s[4:5], 0x48
	s_load_dword s23, s[4:5], 0x54
	v_rcp_iflag_f32_e32 v2, v2
	v_fmamk_f32 v3, v4, 0x4f800000, v3
	v_rcp_f32_e32 v3, v3
	v_mul_f32_e32 v2, 0x4f7ffffe, v2
	s_waitcnt lgkmcnt(0)
	s_mul_i32 s1, s15, s0
	s_mul_hi_u32 s4, s14, s0
	s_mul_i32 s0, s14, s0
	s_add_i32 s1, s4, s1
	s_ashr_i32 s19, s18, 31
	s_lshl_b64 s[0:1], s[0:1], 2
	v_cvt_u32_f32_e32 v5, v2
	s_add_u32 s0, s10, s0
	s_addc_u32 s6, s11, s1
	s_lshl_b64 s[4:5], s[12:13], 2
	v_mul_f32_e32 v4, 0x5f7ffffc, v3
	s_add_u32 s1, s0, s4
	s_addc_u32 s6, s6, s5
	s_add_i32 s0, s21, -1
	s_add_i32 s11, s21, -2
	s_mul_hi_i32 s5, s0, s21
	s_mul_i32 s4, s0, s21
	s_ashr_i32 s10, s21, 31
	s_lshl_b64 s[12:13], s[4:5], 2
	v_cvt_f64_i32_e32 v[2:3], s11
	s_add_u32 s11, s12, -7
	s_addc_u32 s12, s13, -1
	s_sub_i32 s0, 0, s2
	v_mul_f32_e32 v6, 0x2f800000, v4
	v_mul_lo_u32 v7, s0, v5
	s_and_b32 s0, s23, 0xffff
	s_mov_b32 s13, s21
	s_lshr_b64 s[4:5], s[4:5], 1
	v_trunc_f32_e32 v6, v6
	s_mul_hi_u32 s14, s0, s22
	s_mul_i32 s15, s0, s22
	v_mul_hi_u32 v7, v5, v7
	v_fmamk_f32 v8, v6, 0xcf800000, v4
	v_mov_b32_e32 v4, 0
	v_cvt_u32_f32_e32 v10, v6
	v_cvt_u32_f32_e32 v9, v8
	v_add_nc_u32_e32 v11, v5, v7
	s_branch .LBB0_3
.LBB0_2:                                ;   in Loop: Header=BB0_3 Depth=1
	v_add_co_u32 v0, vcc_lo, v0, s15
	v_add_co_ci_u32_e64 v1, null, s14, v1, vcc_lo
	v_cmp_le_u64_e32 vcc_lo, s[16:17], v[0:1]
	s_or_b32 s7, vcc_lo, s7
	s_andn2_b32 exec_lo, exec_lo, s7
	s_cbranch_execz .LBB0_14
.LBB0_3:                                ; =>This Inner Loop Header: Depth=1
	v_or_b32_e32 v5, s3, v1
	v_cmp_ne_u64_e32 vcc_lo, 0, v[4:5]
                                        ; implicit-def: $vgpr5_vgpr6
	s_and_saveexec_b32 s0, vcc_lo
	s_xor_b32 s21, exec_lo, s0
	s_cbranch_execz .LBB0_5
; %bb.4:                                ;   in Loop: Header=BB0_3 Depth=1
	v_readfirstlane_b32 s0, v9
	v_readfirstlane_b32 s22, v10
	s_sub_u32 s23, 0, s2
	s_subb_u32 s24, 0, s3
	s_mul_hi_u32 s25, s23, s0
	s_mul_i32 s26, s23, s22
	s_mul_i32 s27, s24, s0
	s_add_i32 s25, s25, s26
	s_mul_i32 s26, s23, s0
	s_add_i32 s25, s25, s27
	s_mul_hi_u32 s27, s0, s26
	s_mul_i32 s28, s0, s25
	s_mul_hi_u32 s29, s0, s25
	s_add_u32 s27, s27, s28
	s_mul_i32 s30, s22, s26
	s_addc_u32 s28, 0, s29
	s_mul_hi_u32 s26, s22, s26
	s_mul_hi_u32 s29, s22, s25
	s_add_u32 s27, s27, s30
	s_addc_u32 s26, s28, s26
	s_mul_i32 s25, s22, s25
	s_addc_u32 s27, s29, 0
	s_add_u32 s25, s26, s25
	s_addc_u32 s26, 0, s27
	s_add_u32 s0, s0, s25
	s_cselect_b32 s25, -1, 0
	s_mul_i32 s24, s24, s0
	s_cmp_lg_u32 s25, 0
	s_addc_u32 s22, s22, s26
	s_mul_hi_u32 s26, s23, s0
	s_mul_i32 s25, s23, s22
	s_mul_i32 s23, s23, s0
	s_add_i32 s25, s26, s25
	s_mul_hi_u32 s26, s22, s23
	s_add_i32 s25, s25, s24
	s_mul_i32 s27, s22, s23
	s_mul_i32 s28, s0, s25
	s_mul_hi_u32 s23, s0, s23
	s_mul_hi_u32 s29, s0, s25
	s_add_u32 s23, s23, s28
	s_addc_u32 s28, 0, s29
	s_mul_hi_u32 s24, s22, s25
	s_add_u32 s23, s23, s27
	s_addc_u32 s23, s28, s26
	s_mul_i32 s25, s22, s25
	s_addc_u32 s24, s24, 0
	s_add_u32 s23, s23, s25
	s_addc_u32 s24, 0, s24
	s_add_u32 s0, s0, s23
	s_cselect_b32 s23, -1, 0
	v_mul_hi_u32 v12, v0, s0
	s_cmp_lg_u32 s23, 0
	v_mad_u64_u32 v[7:8], null, v1, s0, 0
	s_addc_u32 s22, s22, s24
	v_mad_u64_u32 v[5:6], null, v0, s22, 0
	v_add_co_u32 v12, vcc_lo, v12, v5
	v_add_co_ci_u32_e64 v13, null, 0, v6, vcc_lo
	v_mad_u64_u32 v[5:6], null, v1, s22, 0
	v_add_co_u32 v7, vcc_lo, v12, v7
	v_add_co_ci_u32_e32 v7, vcc_lo, v13, v8, vcc_lo
	v_add_co_ci_u32_e32 v6, vcc_lo, 0, v6, vcc_lo
	v_add_co_u32 v7, vcc_lo, v7, v5
	v_add_co_ci_u32_e64 v8, null, 0, v6, vcc_lo
	v_mul_lo_u32 v12, s3, v7
	v_mad_u64_u32 v[5:6], null, s2, v7, 0
	v_mul_lo_u32 v13, s2, v8
	v_sub_co_u32 v5, vcc_lo, v0, v5
	v_add3_u32 v6, v6, v13, v12
	v_add_co_u32 v13, s0, v7, 2
	v_add_co_ci_u32_e64 v14, null, 0, v8, s0
	v_sub_nc_u32_e32 v12, v1, v6
	v_sub_co_u32 v15, s0, v5, s2
	v_sub_co_ci_u32_e64 v6, null, v1, v6, vcc_lo
	v_subrev_co_ci_u32_e64 v12, null, s3, v12, vcc_lo
	v_cmp_le_u32_e32 vcc_lo, s2, v15
	v_subrev_co_ci_u32_e64 v12, null, 0, v12, s0
	v_cndmask_b32_e64 v15, 0, -1, vcc_lo
	v_cmp_eq_u32_e64 s0, s3, v6
	v_cmp_le_u32_e32 vcc_lo, s3, v12
	v_cndmask_b32_e64 v16, 0, -1, vcc_lo
	v_cmp_le_u32_e32 vcc_lo, s2, v5
	v_cndmask_b32_e64 v5, 0, -1, vcc_lo
	;; [unrolled: 2-line block ×3, first 2 shown]
	v_cmp_eq_u32_e32 vcc_lo, s3, v12
	v_cndmask_b32_e64 v5, v17, v5, s0
	v_cndmask_b32_e32 v12, v16, v15, vcc_lo
	v_add_co_u32 v15, vcc_lo, v7, 1
	v_add_co_ci_u32_e64 v16, null, 0, v8, vcc_lo
	v_cmp_ne_u32_e32 vcc_lo, 0, v12
	v_cndmask_b32_e32 v6, v16, v14, vcc_lo
	v_cndmask_b32_e32 v12, v15, v13, vcc_lo
	v_cmp_ne_u32_e32 vcc_lo, 0, v5
	v_cndmask_b32_e32 v6, v8, v6, vcc_lo
	v_cndmask_b32_e32 v5, v7, v12, vcc_lo
.LBB0_5:                                ;   in Loop: Header=BB0_3 Depth=1
	s_andn2_saveexec_b32 s0, s21
	s_cbranch_execz .LBB0_7
; %bb.6:                                ;   in Loop: Header=BB0_3 Depth=1
	v_mul_hi_u32 v5, v0, v11
	v_mul_lo_u32 v6, v5, s2
	v_add_nc_u32_e32 v7, 1, v5
	v_sub_nc_u32_e32 v6, v0, v6
	v_subrev_nc_u32_e32 v8, s2, v6
	v_cmp_le_u32_e32 vcc_lo, s2, v6
	v_cndmask_b32_e32 v6, v6, v8, vcc_lo
	v_cndmask_b32_e32 v5, v5, v7, vcc_lo
	v_cmp_le_u32_e32 vcc_lo, s2, v6
	v_add_nc_u32_e32 v7, 1, v5
	v_mov_b32_e32 v6, v4
	v_cndmask_b32_e32 v5, v5, v7, vcc_lo
.LBB0_7:                                ;   in Loop: Header=BB0_3 Depth=1
	s_or_b32 exec_lo, exec_lo, s0
	v_mul_lo_u32 v12, v6, s2
	v_mul_lo_u32 v13, v5, s3
	v_mad_u64_u32 v[7:8], null, v5, s2, 0
	s_cmpk_lt_i32 s20, 0x7a
	s_mov_b32 s0, -1
	v_add3_u32 v8, v8, v13, v12
	v_sub_co_u32 v7, vcc_lo, v0, v7
	v_sub_co_ci_u32_e64 v8, null, v1, v8, vcc_lo
	s_cbranch_scc1 .LBB0_11
; %bb.8:                                ;   in Loop: Header=BB0_3 Depth=1
	s_cmpk_eq_i32 s20, 0x7a
	s_cbranch_scc0 .LBB0_10
; %bb.9:                                ;   in Loop: Header=BB0_3 Depth=1
	v_lshlrev_b64 v[12:13], 3, v[7:8]
	v_sub_co_u32 v14, vcc_lo, s11, v12
	v_sub_co_ci_u32_e64 v12, null, s12, v13, vcc_lo
	v_cvt_f64_u32_e32 v[14:15], v14
	v_cvt_f64_u32_e32 v[12:13], v12
	v_ldexp_f64 v[12:13], v[12:13], 32
	v_add_f64 v[12:13], v[12:13], v[14:15]
	v_cmp_gt_f64_e32 vcc_lo, 0x10000000, v[12:13]
	v_cndmask_b32_e64 v14, 0, 0x100, vcc_lo
	v_ldexp_f64 v[12:13], v[12:13], v14
	v_rsq_f64_e32 v[14:15], v[12:13]
	v_mul_f64 v[16:17], v[12:13], v[14:15]
	v_mul_f64 v[14:15], v[14:15], 0.5
	v_fma_f64 v[18:19], -v[14:15], v[16:17], 0.5
	v_fma_f64 v[16:17], v[16:17], v[18:19], v[16:17]
	v_fma_f64 v[14:15], v[14:15], v[18:19], v[14:15]
	v_fma_f64 v[18:19], -v[16:17], v[16:17], v[12:13]
	v_fma_f64 v[16:17], v[18:19], v[14:15], v[16:17]
	v_fma_f64 v[18:19], -v[16:17], v[16:17], v[12:13]
	v_fma_f64 v[14:15], v[18:19], v[14:15], v[16:17]
	v_cndmask_b32_e64 v16, 0, 0xffffff80, vcc_lo
	v_cmp_class_f64_e64 vcc_lo, v[12:13], 0x260
	v_mul_lo_u32 v17, v5, s9
	v_ldexp_f64 v[14:15], v[14:15], v16
	v_cndmask_b32_e32 v13, v15, v13, vcc_lo
	v_cndmask_b32_e32 v12, v14, v12, vcc_lo
	v_fma_f64 v[12:13], v[12:13], 0.5, -0.5
	v_floor_f64_e32 v[12:13], v[12:13]
	v_add_f64 v[12:13], v[2:3], -v[12:13]
	v_trunc_f64_e32 v[12:13], v[12:13]
	v_ldexp_f64 v[14:15], v[12:13], 0xffffffe0
	v_floor_f64_e32 v[14:15], v[14:15]
	v_fma_f64 v[12:13], 0xc1f00000, v[14:15], v[12:13]
	v_cvt_u32_f64_e32 v14, v[14:15]
	v_mad_u64_u32 v[15:16], null, v5, s8, 0
	v_cvt_u32_f64_e32 v13, v[12:13]
	v_mul_lo_u32 v12, v6, s8
	v_add3_u32 v16, v16, v17, v12
	v_mul_lo_u32 v12, v14, s18
	v_lshlrev_b64 v[15:16], 2, v[15:16]
	v_sub_co_u32 v21, vcc_lo, s13, v13
	v_sub_co_ci_u32_e64 v22, null, s10, v14, vcc_lo
	v_mul_lo_u32 v23, v13, s19
	v_mad_u64_u32 v[17:18], null, v13, s18, 0
	v_add_co_u32 v24, vcc_lo, v21, -1
	v_add_co_ci_u32_e64 v25, null, -1, v22, vcc_lo
	v_sub_co_u32 v19, vcc_lo, v7, s4
	v_add3_u32 v18, v18, v23, v12
	v_mul_lo_u32 v12, v25, v21
	v_mul_lo_u32 v23, v24, v22
	v_mad_u64_u32 v[21:22], null, v24, v21, 0
	v_subrev_co_ci_u32_e64 v20, null, s5, v8, vcc_lo
	v_lshlrev_b64 v[17:18], 2, v[17:18]
	v_add_co_u32 v15, vcc_lo, s1, v15
	v_add_co_ci_u32_e64 v16, null, s6, v16, vcc_lo
	v_lshlrev_b64 v[19:20], 2, v[19:20]
	v_add3_u32 v22, v22, v23, v12
	v_add_co_u32 v17, vcc_lo, v15, v17
	v_add_co_ci_u32_e64 v18, null, v16, v18, vcc_lo
	v_lshlrev_b64 v[15:16], 1, v[21:22]
	v_lshlrev_b64 v[12:13], 2, v[13:14]
	v_add_co_u32 v14, vcc_lo, v17, v19
	v_add_co_ci_u32_e64 v17, null, v18, v20, vcc_lo
	v_and_b32_e32 v15, -4, v15
	v_add_co_u32 v12, vcc_lo, v14, v12
	v_add_co_ci_u32_e64 v13, null, v17, v13, vcc_lo
	v_add_co_u32 v12, vcc_lo, v12, v15
	v_add_co_ci_u32_e64 v13, null, v13, v16, vcc_lo
	global_store_dword v[12:13], v4, off offset:4
.LBB0_10:                               ;   in Loop: Header=BB0_3 Depth=1
	s_mov_b32 s0, 0
.LBB0_11:                               ;   in Loop: Header=BB0_3 Depth=1
	s_andn2_b32 vcc_lo, exec_lo, s0
	s_cbranch_vccnz .LBB0_2
; %bb.12:                               ;   in Loop: Header=BB0_3 Depth=1
	s_cmpk_lg_i32 s20, 0x79
	s_cbranch_scc1 .LBB0_2
; %bb.13:                               ;   in Loop: Header=BB0_3 Depth=1
	v_lshlrev_b64 v[12:13], 3, v[7:8]
	v_cvt_f64_u32_e32 v[13:14], v13
	v_or_b32_e32 v12, 1, v12
	v_cvt_f64_u32_e32 v[15:16], v12
	v_ldexp_f64 v[12:13], v[13:14], 32
	v_add_f64 v[12:13], v[12:13], v[15:16]
	v_cmp_gt_f64_e32 vcc_lo, 0x10000000, v[12:13]
	v_cndmask_b32_e64 v14, 0, 0x100, vcc_lo
	v_ldexp_f64 v[12:13], v[12:13], v14
	v_rsq_f64_e32 v[14:15], v[12:13]
	v_mul_f64 v[16:17], v[12:13], v[14:15]
	v_mul_f64 v[14:15], v[14:15], 0.5
	v_fma_f64 v[18:19], -v[14:15], v[16:17], 0.5
	v_fma_f64 v[16:17], v[16:17], v[18:19], v[16:17]
	v_fma_f64 v[14:15], v[14:15], v[18:19], v[14:15]
	v_fma_f64 v[18:19], -v[16:17], v[16:17], v[12:13]
	v_fma_f64 v[16:17], v[18:19], v[14:15], v[16:17]
	v_fma_f64 v[18:19], -v[16:17], v[16:17], v[12:13]
	v_fma_f64 v[14:15], v[18:19], v[14:15], v[16:17]
	v_cndmask_b32_e64 v16, 0, 0xffffff80, vcc_lo
	v_cmp_class_f64_e64 vcc_lo, v[12:13], 0x260
	v_mul_lo_u32 v17, v6, s8
	v_mul_lo_u32 v18, v5, s9
	v_mad_u64_u32 v[5:6], null, v5, s8, 0
	v_add3_u32 v6, v6, v18, v17
	v_lshlrev_b64 v[5:6], 2, v[5:6]
	v_ldexp_f64 v[14:15], v[14:15], v16
	v_cndmask_b32_e32 v13, v15, v13, vcc_lo
	v_cndmask_b32_e32 v12, v14, v12, vcc_lo
	v_add_f64 v[12:13], v[12:13], -1.0
	v_mul_f64 v[12:13], v[12:13], 0.5
	v_trunc_f64_e32 v[12:13], v[12:13]
	v_ldexp_f64 v[14:15], v[12:13], 0xffffffe0
	v_floor_f64_e32 v[14:15], v[14:15]
	v_fma_f64 v[12:13], 0xc1f00000, v[14:15], v[12:13]
	v_cvt_u32_f64_e32 v14, v[14:15]
	v_cvt_u32_f64_e32 v13, v[12:13]
	v_mad_u64_u32 v[15:16], null, v13, v13, v[13:14]
	v_mul_lo_u32 v19, v13, v14
	v_mul_lo_u32 v14, s18, v14
	;; [unrolled: 1-line block ×3, first 2 shown]
	v_mad_u64_u32 v[12:13], null, s18, v13, s[18:19]
	v_add3_u32 v16, v19, v16, v19
	v_add3_u32 v13, v20, v13, v14
	v_lshrrev_b64 v[14:15], 1, v[15:16]
	v_lshlrev_b64 v[12:13], 2, v[12:13]
	v_sub_co_u32 v7, vcc_lo, v7, v14
	v_sub_co_ci_u32_e64 v8, null, v8, v15, vcc_lo
	v_add_co_u32 v14, vcc_lo, s1, v5
	v_add_co_ci_u32_e64 v15, null, s6, v6, vcc_lo
	v_lshlrev_b64 v[5:6], 2, v[7:8]
	v_add_co_u32 v7, vcc_lo, v14, v12
	v_add_co_ci_u32_e64 v8, null, v15, v13, vcc_lo
	v_add_co_u32 v5, vcc_lo, v7, v5
	v_add_co_ci_u32_e64 v6, null, v8, v6, vcc_lo
	global_store_dword v[5:6], v4, off
	s_branch .LBB0_2
.LBB0_14:
	s_endpgm
	.section	.rodata,"a",@progbits
	.p2align	6, 0x0
	.amdhsa_kernel _ZL18rocblas_trtri_fillILi128EfPfEvP15_rocblas_handle13rocblas_fill_ililT1_llii
		.amdhsa_group_segment_fixed_size 0
		.amdhsa_private_segment_fixed_size 0
		.amdhsa_kernarg_size 328
		.amdhsa_user_sgpr_count 6
		.amdhsa_user_sgpr_private_segment_buffer 1
		.amdhsa_user_sgpr_dispatch_ptr 0
		.amdhsa_user_sgpr_queue_ptr 0
		.amdhsa_user_sgpr_kernarg_segment_ptr 1
		.amdhsa_user_sgpr_dispatch_id 0
		.amdhsa_user_sgpr_flat_scratch_init 0
		.amdhsa_user_sgpr_private_segment_size 0
		.amdhsa_wavefront_size32 1
		.amdhsa_uses_dynamic_stack 0
		.amdhsa_system_sgpr_private_segment_wavefront_offset 0
		.amdhsa_system_sgpr_workgroup_id_x 1
		.amdhsa_system_sgpr_workgroup_id_y 0
		.amdhsa_system_sgpr_workgroup_id_z 1
		.amdhsa_system_sgpr_workgroup_info 0
		.amdhsa_system_vgpr_workitem_id 0
		.amdhsa_next_free_vgpr 26
		.amdhsa_next_free_sgpr 31
		.amdhsa_reserve_vcc 1
		.amdhsa_reserve_flat_scratch 0
		.amdhsa_float_round_mode_32 0
		.amdhsa_float_round_mode_16_64 0
		.amdhsa_float_denorm_mode_32 3
		.amdhsa_float_denorm_mode_16_64 3
		.amdhsa_dx10_clamp 1
		.amdhsa_ieee_mode 1
		.amdhsa_fp16_overflow 0
		.amdhsa_workgroup_processor_mode 1
		.amdhsa_memory_ordered 1
		.amdhsa_forward_progress 1
		.amdhsa_shared_vgpr_count 0
		.amdhsa_exception_fp_ieee_invalid_op 0
		.amdhsa_exception_fp_denorm_src 0
		.amdhsa_exception_fp_ieee_div_zero 0
		.amdhsa_exception_fp_ieee_overflow 0
		.amdhsa_exception_fp_ieee_underflow 0
		.amdhsa_exception_fp_ieee_inexact 0
		.amdhsa_exception_int_div_zero 0
	.end_amdhsa_kernel
	.section	.text._ZL18rocblas_trtri_fillILi128EfPfEvP15_rocblas_handle13rocblas_fill_ililT1_llii,"axG",@progbits,_ZL18rocblas_trtri_fillILi128EfPfEvP15_rocblas_handle13rocblas_fill_ililT1_llii,comdat
.Lfunc_end0:
	.size	_ZL18rocblas_trtri_fillILi128EfPfEvP15_rocblas_handle13rocblas_fill_ililT1_llii, .Lfunc_end0-_ZL18rocblas_trtri_fillILi128EfPfEvP15_rocblas_handle13rocblas_fill_ililT1_llii
                                        ; -- End function
	.set _ZL18rocblas_trtri_fillILi128EfPfEvP15_rocblas_handle13rocblas_fill_ililT1_llii.num_vgpr, 26
	.set _ZL18rocblas_trtri_fillILi128EfPfEvP15_rocblas_handle13rocblas_fill_ililT1_llii.num_agpr, 0
	.set _ZL18rocblas_trtri_fillILi128EfPfEvP15_rocblas_handle13rocblas_fill_ililT1_llii.numbered_sgpr, 31
	.set _ZL18rocblas_trtri_fillILi128EfPfEvP15_rocblas_handle13rocblas_fill_ililT1_llii.num_named_barrier, 0
	.set _ZL18rocblas_trtri_fillILi128EfPfEvP15_rocblas_handle13rocblas_fill_ililT1_llii.private_seg_size, 0
	.set _ZL18rocblas_trtri_fillILi128EfPfEvP15_rocblas_handle13rocblas_fill_ililT1_llii.uses_vcc, 1
	.set _ZL18rocblas_trtri_fillILi128EfPfEvP15_rocblas_handle13rocblas_fill_ililT1_llii.uses_flat_scratch, 0
	.set _ZL18rocblas_trtri_fillILi128EfPfEvP15_rocblas_handle13rocblas_fill_ililT1_llii.has_dyn_sized_stack, 0
	.set _ZL18rocblas_trtri_fillILi128EfPfEvP15_rocblas_handle13rocblas_fill_ililT1_llii.has_recursion, 0
	.set _ZL18rocblas_trtri_fillILi128EfPfEvP15_rocblas_handle13rocblas_fill_ililT1_llii.has_indirect_call, 0
	.section	.AMDGPU.csdata,"",@progbits
; Kernel info:
; codeLenInByte = 2016
; TotalNumSgprs: 33
; NumVgprs: 26
; ScratchSize: 0
; MemoryBound: 0
; FloatMode: 240
; IeeeMode: 1
; LDSByteSize: 0 bytes/workgroup (compile time only)
; SGPRBlocks: 0
; VGPRBlocks: 3
; NumSGPRsForWavesPerEU: 33
; NumVGPRsForWavesPerEU: 26
; Occupancy: 16
; WaveLimiterHint : 0
; COMPUTE_PGM_RSRC2:SCRATCH_EN: 0
; COMPUTE_PGM_RSRC2:USER_SGPR: 6
; COMPUTE_PGM_RSRC2:TRAP_HANDLER: 0
; COMPUTE_PGM_RSRC2:TGID_X_EN: 1
; COMPUTE_PGM_RSRC2:TGID_Y_EN: 0
; COMPUTE_PGM_RSRC2:TGID_Z_EN: 1
; COMPUTE_PGM_RSRC2:TIDIG_COMP_CNT: 0
	.section	.text._ZL26rocblas_trtri_small_kernelILi16EfPKfPfEv13rocblas_fill_17rocblas_diagonal_iT1_lillT2_lilli,"axG",@progbits,_ZL26rocblas_trtri_small_kernelILi16EfPKfPfEv13rocblas_fill_17rocblas_diagonal_iT1_lillT2_lilli,comdat
	.globl	_ZL26rocblas_trtri_small_kernelILi16EfPKfPfEv13rocblas_fill_17rocblas_diagonal_iT1_lillT2_lilli ; -- Begin function _ZL26rocblas_trtri_small_kernelILi16EfPKfPfEv13rocblas_fill_17rocblas_diagonal_iT1_lillT2_lilli
	.p2align	8
	.type	_ZL26rocblas_trtri_small_kernelILi16EfPKfPfEv13rocblas_fill_17rocblas_diagonal_iT1_lillT2_lilli,@function
_ZL26rocblas_trtri_small_kernelILi16EfPKfPfEv13rocblas_fill_17rocblas_diagonal_iT1_lillT2_lilli: ; @_ZL26rocblas_trtri_small_kernelILi16EfPKfPfEv13rocblas_fill_17rocblas_diagonal_iT1_lillT2_lilli
; %bb.0:
	s_load_dwordx4 s[16:19], s[4:5], 0x0
	s_waitcnt lgkmcnt(0)
	s_cmp_lt_i32 s18, 1
	s_cbranch_scc1 .LBB1_36
; %bb.1:
	s_load_dwordx8 s[8:15], s[4:5], 0x28
	v_cmp_le_u32_e64 s1, s18, v0
	v_cmp_gt_u32_e64 s0, s18, v0
	s_and_saveexec_b32 s3, s0
	s_cbranch_execz .LBB1_9
; %bb.2:
	s_clause 0x1
	s_load_dwordx4 s[20:23], s[4:5], 0x10
	s_load_dword s24, s[4:5], 0x20
	s_waitcnt lgkmcnt(0)
	s_mul_i32 s2, s9, s7
	s_mul_hi_u32 s9, s8, s7
	s_mul_i32 s8, s8, s7
	s_add_i32 s9, s9, s2
	s_mul_i32 s2, s11, s6
	s_mul_hi_u32 s11, s10, s6
	s_mul_i32 s10, s10, s6
	s_add_i32 s11, s11, s2
	s_cmpk_lg_i32 s16, 0x7a
	s_mov_b32 s2, -1
	s_cbranch_scc0 .LBB1_6
; %bb.3:
	s_add_i32 s2, s18, -1
	s_ashr_i32 s25, s24, 31
	s_lshl_b64 s[26:27], s[10:11], 2
	s_lshl_b64 s[28:29], s[8:9], 2
	s_lshl_b32 s19, s18, 2
	s_add_u32 s28, s26, s28
	s_mul_i32 s26, s25, s2
	s_mul_hi_u32 s30, s24, s2
	s_addc_u32 s29, s27, s29
	s_add_i32 s27, s30, s26
	s_mul_i32 s26, s24, s2
	v_sub_nc_u32_e32 v1, s2, v0
	s_lshl_b64 s[26:27], s[26:27], 2
	s_add_u32 s2, s28, s26
	s_addc_u32 s28, s29, s27
	s_lshl_b64 s[26:27], s[22:23], 2
	v_lshlrev_b32_e32 v3, 2, v1
	v_lshlrev_b32_e32 v1, 2, v0
	s_add_u32 s2, s2, s26
	s_addc_u32 s26, s28, s27
	s_add_u32 s2, s20, s2
	s_addc_u32 s28, s21, s26
	v_add_co_u32 v1, s2, s2, v1
	s_lshl_b64 s[26:27], s[24:25], 2
	v_add_co_ci_u32_e64 v2, null, s28, 0, s2
	s_sub_u32 s25, 0, s26
	s_subb_u32 s27, 0, s27
	s_mov_b32 s26, 0
	s_mov_b32 s28, s18
.LBB1_4:                                ; =>This Inner Loop Header: Depth=1
	global_load_dword v4, v[1:2], off
	s_add_i32 s28, s28, -1
	v_add_co_u32 v1, vcc_lo, v1, s25
	v_cmp_le_u32_e64 s2, s28, v0
	v_add_co_ci_u32_e64 v2, null, s27, v2, vcc_lo
	s_or_b32 s26, s2, s26
	s_waitcnt vmcnt(0)
	ds_write_b32 v3, v4
	v_add_nc_u32_e32 v3, s19, v3
	s_andn2_b32 exec_lo, exec_lo, s26
	s_cbranch_execnz .LBB1_4
; %bb.5:
	s_or_b32 exec_lo, exec_lo, s26
	s_mov_b32 s2, 0
.LBB1_6:
	s_and_b32 vcc_lo, exec_lo, s2
	s_cbranch_vccz .LBB1_9
; %bb.7:
	s_lshl_b64 s[8:9], s[8:9], 2
	v_lshlrev_b32_e32 v3, 2, v0
	s_add_u32 s2, s20, s8
	s_addc_u32 s19, s21, s9
	s_lshl_b64 s[8:9], s[22:23], 2
	v_add_nc_u32_e32 v4, 1, v0
	s_add_u32 s2, s2, s8
	s_addc_u32 s19, s19, s9
	s_lshl_b64 s[8:9], s[10:11], 2
	s_mov_b32 s11, 0
	s_add_u32 s2, s2, s8
	s_addc_u32 s8, s19, s9
	v_add_co_u32 v1, s2, s2, v3
	v_add_co_ci_u32_e64 v2, null, s8, 0, s2
	s_ashr_i32 s25, s24, 31
	s_lshl_b32 s10, s18, 2
	s_lshl_b64 s[8:9], s[24:25], 2
.LBB1_8:                                ; =>This Inner Loop Header: Depth=1
	global_load_dword v5, v[1:2], off
	v_add_nc_u32_e32 v4, -1, v4
	v_add_co_u32 v1, vcc_lo, v1, s8
	v_add_co_ci_u32_e64 v2, null, s9, v2, vcc_lo
	v_cmp_eq_u32_e64 s2, 0, v4
	s_or_b32 s11, s2, s11
	s_waitcnt vmcnt(0)
	ds_write_b32 v3, v5
	v_add_nc_u32_e32 v3, s10, v3
	s_andn2_b32 exec_lo, exec_lo, s11
	s_cbranch_execnz .LBB1_8
.LBB1_9:
	s_or_b32 exec_lo, exec_lo, s3
	s_waitcnt lgkmcnt(0)
	; wave barrier
	buffer_gl0_inv
                                        ; implicit-def: $vgpr1
	s_and_saveexec_b32 s2, s1
	s_xor_b32 s1, exec_lo, s2
; %bb.10:
	v_mad_u64_u32 v[1:2], null, v0, s18, v[0:1]
; %bb.11:
	s_andn2_saveexec_b32 s1, s1
	s_cbranch_execz .LBB1_17
; %bb.12:
	v_mad_u64_u32 v[1:2], null, v0, s18, v[0:1]
	v_mov_b32_e32 v4, 1.0
	s_cmpk_eq_i32 s17, 0x84
	v_lshlrev_b32_e32 v2, 2, v1
	s_cbranch_scc1 .LBB1_16
; %bb.13:
	ds_read_b32 v3, v2
	v_mov_b32_e32 v4, 1.0
	s_mov_b32 s2, exec_lo
	s_waitcnt lgkmcnt(0)
	v_cmpx_neq_f32_e32 0, v3
	s_cbranch_execz .LBB1_15
; %bb.14:
	v_div_scale_f32 v4, null, v3, v3, 1.0
	v_rcp_f32_e32 v5, v4
	v_fma_f32 v6, -v4, v5, 1.0
	v_fmac_f32_e32 v5, v6, v5
	v_div_scale_f32 v6, vcc_lo, 1.0, v3, 1.0
	v_mul_f32_e32 v7, v6, v5
	v_fma_f32 v8, -v4, v7, v6
	v_fmac_f32_e32 v7, v8, v5
	v_fma_f32 v4, -v4, v7, v6
	v_div_fmas_f32 v4, v4, v5, v7
	v_div_fixup_f32 v4, v4, v3, 1.0
.LBB1_15:
	s_or_b32 exec_lo, exec_lo, s2
.LBB1_16:
	ds_write_b32 v2, v4
.LBB1_17:
	s_or_b32 exec_lo, exec_lo, s1
	v_lshlrev_b32_e32 v3, 2, v0
	s_lshl_b32 s1, s18, 2
	v_lshlrev_b32_e32 v1, 2, v1
	s_mov_b32 s2, 4
	s_add_i32 s3, s1, 4
	v_add_nc_u32_e32 v2, s1, v3
	s_mov_b32 s8, 0
	s_waitcnt lgkmcnt(0)
	; wave barrier
	buffer_gl0_inv
	s_branch .LBB1_19
.LBB1_18:                               ;   in Loop: Header=BB1_19 Depth=1
	s_inst_prefetch 0x2
	v_add_nc_u32_e32 v2, s1, v2
	s_add_i32 s2, s2, s3
	s_cmp_eq_u32 s8, s18
	; wave barrier
	buffer_gl0_inv
	s_cbranch_scc1 .LBB1_28
.LBB1_19:                               ; =>This Loop Header: Depth=1
                                        ;     Child Loop BB1_24 Depth 2
	v_mov_b32_e32 v4, 0
	s_mul_i32 s9, s8, s18
	s_mov_b32 s10, exec_lo
	v_cmpx_lt_u32_e64 s8, v0
	s_cbranch_execz .LBB1_21
; %bb.20:                               ;   in Loop: Header=BB1_19 Depth=1
	s_lshl_b32 s11, s8, 2
	s_lshl_b32 s17, s9, 2
	s_add_i32 s11, s11, s17
	v_add_nc_u32_e32 v4, s17, v3
	v_mov_b32_e32 v5, s11
	ds_read_b32 v4, v4
	ds_read_b32 v5, v5
	s_waitcnt lgkmcnt(0)
	v_fma_f32 v4, v4, v5, 0
.LBB1_21:                               ;   in Loop: Header=BB1_19 Depth=1
	s_or_b32 exec_lo, exec_lo, s10
	s_add_i32 s8, s8, 1
	s_cmp_ge_i32 s8, s18
	; wave barrier
	buffer_gl0_inv
	s_cbranch_scc1 .LBB1_18
; %bb.22:                               ;   in Loop: Header=BB1_19 Depth=1
	v_lshl_add_u32 v5, s9, 2, v3
	v_mov_b32_e32 v6, v2
	s_mov_b32 s9, s2
	s_mov_b32 s10, s8
	s_inst_prefetch 0x1
	s_branch .LBB1_24
	.p2align	6
.LBB1_23:                               ;   in Loop: Header=BB1_24 Depth=2
	s_or_b32 exec_lo, exec_lo, s11
	v_add_nc_u32_e32 v6, s1, v6
	s_add_i32 s10, s10, 1
	s_add_i32 s9, s9, 4
	s_cmp_eq_u32 s18, s10
	; wave barrier
	buffer_gl0_inv
	s_cbranch_scc1 .LBB1_18
.LBB1_24:                               ;   Parent Loop BB1_19 Depth=1
                                        ; =>  This Inner Loop Header: Depth=2
	s_mov_b32 s11, exec_lo
	v_cmpx_eq_u32_e64 s10, v0
	s_cbranch_execz .LBB1_26
; %bb.25:                               ;   in Loop: Header=BB1_24 Depth=2
	ds_read_b32 v7, v1
	s_waitcnt lgkmcnt(0)
	v_mul_f32_e64 v7, -v4, v7
	ds_write_b32 v5, v7
.LBB1_26:                               ;   in Loop: Header=BB1_24 Depth=2
	s_or_b32 exec_lo, exec_lo, s11
	s_mov_b32 s11, exec_lo
	s_waitcnt lgkmcnt(0)
	; wave barrier
	buffer_gl0_inv
	v_cmpx_lt_u32_e64 s10, v0
	s_cbranch_execz .LBB1_23
; %bb.27:                               ;   in Loop: Header=BB1_24 Depth=2
	v_mov_b32_e32 v7, s9
	ds_read_b32 v8, v6
	ds_read_b32 v7, v7
	s_waitcnt lgkmcnt(0)
	v_fmac_f32_e32 v4, v8, v7
	s_branch .LBB1_23
.LBB1_28:
	s_and_saveexec_b32 s2, s0
	s_cbranch_execz .LBB1_36
; %bb.29:
	s_clause 0x1
	s_load_dwordx4 s[8:11], s[4:5], 0x50
	s_load_dword s2, s[4:5], 0x48
	s_waitcnt lgkmcnt(0)
	s_mul_i32 s0, s9, s7
	s_mul_hi_u32 s3, s8, s7
	s_mul_i32 s4, s8, s7
	s_mul_i32 s7, s11, s6
	s_mul_hi_u32 s8, s10, s6
	s_add_i32 s5, s3, s0
	s_add_i32 s7, s8, s7
	s_mul_i32 s6, s10, s6
	s_cmpk_lg_i32 s16, 0x7a
	s_mov_b32 s0, -1
	s_cbranch_scc0 .LBB1_33
; %bb.30:
	s_add_i32 s0, s18, -1
	s_lshl_b64 s[8:9], s[6:7], 2
	s_lshl_b64 s[10:11], s[4:5], 2
	s_ashr_i32 s3, s2, 31
	s_add_u32 s10, s8, s10
	s_mul_i32 s8, s3, s0
	s_mul_hi_u32 s16, s2, s0
	s_addc_u32 s11, s9, s11
	s_add_i32 s9, s16, s8
	s_mul_i32 s8, s2, s0
	v_sub_nc_u32_e32 v1, s0, v0
	s_lshl_b64 s[8:9], s[8:9], 2
	s_add_u32 s0, s10, s8
	s_addc_u32 s10, s11, s9
	s_lshl_b64 s[8:9], s[14:15], 2
	v_lshlrev_b32_e32 v4, 2, v1
	v_lshlrev_b32_e32 v1, 2, v0
	s_add_u32 s0, s0, s8
	s_addc_u32 s8, s10, s9
	s_add_u32 s0, s12, s0
	s_addc_u32 s10, s13, s8
	v_add_co_u32 v1, s0, s0, v1
	s_lshl_b64 s[8:9], s[2:3], 2
	v_add_co_ci_u32_e64 v2, null, s10, 0, s0
	s_sub_u32 s3, 0, s8
	s_subb_u32 s9, 0, s9
	s_mov_b32 s8, 0
.LBB1_31:                               ; =>This Inner Loop Header: Depth=1
	ds_read_b32 v5, v4
	s_add_i32 s18, s18, -1
	v_add_nc_u32_e32 v4, s1, v4
	v_cmp_le_u32_e32 vcc_lo, s18, v0
	s_or_b32 s8, vcc_lo, s8
	s_waitcnt lgkmcnt(0)
	global_store_dword v[1:2], v5, off
	v_add_co_u32 v1, s0, v1, s3
	v_add_co_ci_u32_e64 v2, null, s9, v2, s0
	s_andn2_b32 exec_lo, exec_lo, s8
	s_cbranch_execnz .LBB1_31
; %bb.32:
	s_or_b32 exec_lo, exec_lo, s8
	s_mov_b32 s0, 0
.LBB1_33:
	s_and_b32 vcc_lo, exec_lo, s0
	s_cbranch_vccz .LBB1_36
; %bb.34:
	s_lshl_b64 s[4:5], s[4:5], 2
	v_lshlrev_b32_e32 v1, 2, v0
	s_add_u32 s0, s12, s4
	s_addc_u32 s3, s13, s5
	s_lshl_b64 s[4:5], s[14:15], 2
	v_add_nc_u32_e32 v0, 1, v0
	s_add_u32 s0, s0, s4
	s_addc_u32 s3, s3, s5
	s_lshl_b64 s[4:5], s[6:7], 2
	s_add_u32 s0, s0, s4
	s_addc_u32 s4, s3, s5
	v_add_co_u32 v1, s0, s0, v1
	v_add_co_ci_u32_e64 v2, null, s4, 0, s0
	s_ashr_i32 s3, s2, 31
	s_mov_b32 s4, 0
	s_lshl_b64 s[2:3], s[2:3], 2
.LBB1_35:                               ; =>This Inner Loop Header: Depth=1
	ds_read_b32 v4, v3
	v_add_nc_u32_e32 v0, -1, v0
	v_add_nc_u32_e32 v3, s1, v3
	v_cmp_eq_u32_e32 vcc_lo, 0, v0
	s_or_b32 s4, vcc_lo, s4
	s_waitcnt lgkmcnt(0)
	global_store_dword v[1:2], v4, off
	v_add_co_u32 v1, s0, v1, s2
	v_add_co_ci_u32_e64 v2, null, s3, v2, s0
	s_andn2_b32 exec_lo, exec_lo, s4
	s_cbranch_execnz .LBB1_35
.LBB1_36:
	s_endpgm
	.section	.rodata,"a",@progbits
	.p2align	6, 0x0
	.amdhsa_kernel _ZL26rocblas_trtri_small_kernelILi16EfPKfPfEv13rocblas_fill_17rocblas_diagonal_iT1_lillT2_lilli
		.amdhsa_group_segment_fixed_size 1024
		.amdhsa_private_segment_fixed_size 0
		.amdhsa_kernarg_size 100
		.amdhsa_user_sgpr_count 6
		.amdhsa_user_sgpr_private_segment_buffer 1
		.amdhsa_user_sgpr_dispatch_ptr 0
		.amdhsa_user_sgpr_queue_ptr 0
		.amdhsa_user_sgpr_kernarg_segment_ptr 1
		.amdhsa_user_sgpr_dispatch_id 0
		.amdhsa_user_sgpr_flat_scratch_init 0
		.amdhsa_user_sgpr_private_segment_size 0
		.amdhsa_wavefront_size32 1
		.amdhsa_uses_dynamic_stack 0
		.amdhsa_system_sgpr_private_segment_wavefront_offset 0
		.amdhsa_system_sgpr_workgroup_id_x 1
		.amdhsa_system_sgpr_workgroup_id_y 0
		.amdhsa_system_sgpr_workgroup_id_z 1
		.amdhsa_system_sgpr_workgroup_info 0
		.amdhsa_system_vgpr_workitem_id 0
		.amdhsa_next_free_vgpr 9
		.amdhsa_next_free_sgpr 31
		.amdhsa_reserve_vcc 1
		.amdhsa_reserve_flat_scratch 0
		.amdhsa_float_round_mode_32 0
		.amdhsa_float_round_mode_16_64 0
		.amdhsa_float_denorm_mode_32 3
		.amdhsa_float_denorm_mode_16_64 3
		.amdhsa_dx10_clamp 1
		.amdhsa_ieee_mode 1
		.amdhsa_fp16_overflow 0
		.amdhsa_workgroup_processor_mode 1
		.amdhsa_memory_ordered 1
		.amdhsa_forward_progress 1
		.amdhsa_shared_vgpr_count 0
		.amdhsa_exception_fp_ieee_invalid_op 0
		.amdhsa_exception_fp_denorm_src 0
		.amdhsa_exception_fp_ieee_div_zero 0
		.amdhsa_exception_fp_ieee_overflow 0
		.amdhsa_exception_fp_ieee_underflow 0
		.amdhsa_exception_fp_ieee_inexact 0
		.amdhsa_exception_int_div_zero 0
	.end_amdhsa_kernel
	.section	.text._ZL26rocblas_trtri_small_kernelILi16EfPKfPfEv13rocblas_fill_17rocblas_diagonal_iT1_lillT2_lilli,"axG",@progbits,_ZL26rocblas_trtri_small_kernelILi16EfPKfPfEv13rocblas_fill_17rocblas_diagonal_iT1_lillT2_lilli,comdat
.Lfunc_end1:
	.size	_ZL26rocblas_trtri_small_kernelILi16EfPKfPfEv13rocblas_fill_17rocblas_diagonal_iT1_lillT2_lilli, .Lfunc_end1-_ZL26rocblas_trtri_small_kernelILi16EfPKfPfEv13rocblas_fill_17rocblas_diagonal_iT1_lillT2_lilli
                                        ; -- End function
	.set _ZL26rocblas_trtri_small_kernelILi16EfPKfPfEv13rocblas_fill_17rocblas_diagonal_iT1_lillT2_lilli.num_vgpr, 9
	.set _ZL26rocblas_trtri_small_kernelILi16EfPKfPfEv13rocblas_fill_17rocblas_diagonal_iT1_lillT2_lilli.num_agpr, 0
	.set _ZL26rocblas_trtri_small_kernelILi16EfPKfPfEv13rocblas_fill_17rocblas_diagonal_iT1_lillT2_lilli.numbered_sgpr, 31
	.set _ZL26rocblas_trtri_small_kernelILi16EfPKfPfEv13rocblas_fill_17rocblas_diagonal_iT1_lillT2_lilli.num_named_barrier, 0
	.set _ZL26rocblas_trtri_small_kernelILi16EfPKfPfEv13rocblas_fill_17rocblas_diagonal_iT1_lillT2_lilli.private_seg_size, 0
	.set _ZL26rocblas_trtri_small_kernelILi16EfPKfPfEv13rocblas_fill_17rocblas_diagonal_iT1_lillT2_lilli.uses_vcc, 1
	.set _ZL26rocblas_trtri_small_kernelILi16EfPKfPfEv13rocblas_fill_17rocblas_diagonal_iT1_lillT2_lilli.uses_flat_scratch, 0
	.set _ZL26rocblas_trtri_small_kernelILi16EfPKfPfEv13rocblas_fill_17rocblas_diagonal_iT1_lillT2_lilli.has_dyn_sized_stack, 0
	.set _ZL26rocblas_trtri_small_kernelILi16EfPKfPfEv13rocblas_fill_17rocblas_diagonal_iT1_lillT2_lilli.has_recursion, 0
	.set _ZL26rocblas_trtri_small_kernelILi16EfPKfPfEv13rocblas_fill_17rocblas_diagonal_iT1_lillT2_lilli.has_indirect_call, 0
	.section	.AMDGPU.csdata,"",@progbits
; Kernel info:
; codeLenInByte = 1440
; TotalNumSgprs: 33
; NumVgprs: 9
; ScratchSize: 0
; MemoryBound: 0
; FloatMode: 240
; IeeeMode: 1
; LDSByteSize: 1024 bytes/workgroup (compile time only)
; SGPRBlocks: 0
; VGPRBlocks: 1
; NumSGPRsForWavesPerEU: 33
; NumVGPRsForWavesPerEU: 9
; Occupancy: 16
; WaveLimiterHint : 0
; COMPUTE_PGM_RSRC2:SCRATCH_EN: 0
; COMPUTE_PGM_RSRC2:USER_SGPR: 6
; COMPUTE_PGM_RSRC2:TRAP_HANDLER: 0
; COMPUTE_PGM_RSRC2:TGID_X_EN: 1
; COMPUTE_PGM_RSRC2:TGID_Y_EN: 0
; COMPUTE_PGM_RSRC2:TGID_Z_EN: 1
; COMPUTE_PGM_RSRC2:TIDIG_COMP_CNT: 0
	.section	.text._ZL29rocblas_trtri_diagonal_kernelILi16EfPKfPfEv13rocblas_fill_17rocblas_diagonal_iT1_lillT2_lilli,"axG",@progbits,_ZL29rocblas_trtri_diagonal_kernelILi16EfPKfPfEv13rocblas_fill_17rocblas_diagonal_iT1_lillT2_lilli,comdat
	.globl	_ZL29rocblas_trtri_diagonal_kernelILi16EfPKfPfEv13rocblas_fill_17rocblas_diagonal_iT1_lillT2_lilli ; -- Begin function _ZL29rocblas_trtri_diagonal_kernelILi16EfPKfPfEv13rocblas_fill_17rocblas_diagonal_iT1_lillT2_lilli
	.p2align	8
	.type	_ZL29rocblas_trtri_diagonal_kernelILi16EfPKfPfEv13rocblas_fill_17rocblas_diagonal_iT1_lillT2_lilli,@function
_ZL29rocblas_trtri_diagonal_kernelILi16EfPKfPfEv13rocblas_fill_17rocblas_diagonal_iT1_lillT2_lilli: ; @_ZL29rocblas_trtri_diagonal_kernelILi16EfPKfPfEv13rocblas_fill_17rocblas_diagonal_iT1_lillT2_lilli
; %bb.0:
	s_load_dwordx4 s[16:19], s[4:5], 0x0
	s_waitcnt lgkmcnt(0)
	s_ashr_i32 s0, s18, 31
	s_lshr_b32 s0, s0, 27
	s_add_i32 s0, s18, s0
	s_ashr_i32 s0, s0, 5
	v_cvt_f32_u32_e32 v1, s0
	s_sub_i32 s2, 0, s0
	v_rcp_iflag_f32_e32 v1, v1
	v_mul_f32_e32 v1, 0x4f7ffffe, v1
	v_cvt_u32_f32_e32 v1, v1
	v_readfirstlane_b32 s1, v1
	s_mul_i32 s2, s2, s1
	s_mul_hi_u32 s2, s1, s2
	s_add_i32 s1, s1, s2
	s_mul_hi_u32 s1, s6, s1
	s_mul_i32 s2, s1, s0
	s_add_i32 s3, s1, 1
	s_sub_i32 s2, s6, s2
	s_sub_i32 s8, s2, s0
	s_cmp_ge_u32 s2, s0
	s_cselect_b32 s1, s3, s1
	s_cselect_b32 s2, s8, s2
	s_add_i32 s3, s1, 1
	s_cmp_ge_u32 s2, s0
	s_cselect_b32 s28, s3, s1
	s_mul_i32 s0, s28, s0
	s_sub_i32 s29, s6, s0
	s_lshl_b32 s0, s29, 4
	s_cmp_eq_u32 s18, s0
	s_cbranch_scc1 .LBB2_89
; %bb.1:
	s_sub_i32 s27, s18, s0
	v_mov_b32_e32 v1, v0
	s_min_u32 s26, s27, 16
	s_lshl_b32 s6, s26, 1
	v_cmp_gt_u32_e64 s2, s26, v0
	v_cmp_le_u32_e64 s0, s26, v0
	v_cmp_gt_u32_e64 s1, s6, v0
	v_cmp_le_u32_e32 vcc_lo, s6, v0
	s_and_saveexec_b32 s3, s0
	s_cbranch_execz .LBB2_7
; %bb.2:
                                        ; implicit-def: $vgpr1
	s_and_saveexec_b32 s8, vcc_lo
	s_xor_b32 s8, exec_lo, s8
; %bb.3:
	v_subrev_nc_u32_e32 v1, s6, v0
; %bb.4:
	s_andn2_saveexec_b32 s6, s8
; %bb.5:
	v_subrev_nc_u32_e32 v1, s26, v0
; %bb.6:
	s_or_b32 exec_lo, exec_lo, s6
.LBB2_7:
	s_or_b32 exec_lo, exec_lo, s3
	s_clause 0x2
	s_load_dword s18, s[4:5], 0x20
	s_load_dwordx8 s[8:15], s[4:5], 0x28
	s_load_dwordx4 s[20:23], s[4:5], 0x10
	v_cndmask_b32_e64 v2, 0, 0xc00, s1
	v_cndmask_b32_e64 v7, v2, 0x800, s2
	s_waitcnt lgkmcnt(0)
	s_ashr_i32 s19, s18, 31
	s_mul_i32 s3, s9, s7
	s_mul_hi_u32 s6, s8, s7
	s_mul_i32 s2, s8, s7
	s_lshl_b64 s[8:9], s[18:19], 5
	s_add_i32 s3, s6, s3
	s_add_u32 s6, s8, 32
	s_mul_i32 s11, s11, s28
	s_mul_hi_u32 s24, s10, s28
	s_addc_u32 s8, s9, 0
	s_add_i32 s11, s24, s11
	s_mul_hi_u32 s9, s6, s29
	s_mul_i32 s24, s8, s29
	s_mul_i32 s8, s6, s29
	s_add_i32 s9, s9, s24
	s_mul_i32 s10, s10, s28
	s_and_saveexec_b32 s6, vcc_lo
	s_xor_b32 s6, exec_lo, s6
	s_cbranch_execz .LBB2_17
; %bb.8:
	s_mul_i32 s24, s26, 3
	s_mov_b32 s30, exec_lo
	v_cmpx_gt_u32_e64 s24, v0
	s_cbranch_execz .LBB2_16
; %bb.9:
	s_cmpk_eq_i32 s16, 0x7a
	s_mov_b32 s24, -1
	s_cbranch_scc1 .LBB2_13
; %bb.10:
	s_add_i32 s34, s26, -1
	s_lshl_b32 s33, s26, 2
	s_mul_i32 s25, s26, s34
	s_lshl_b64 s[36:37], s[10:11], 2
	s_lshl_b64 s[38:39], s[2:3], 2
	s_add_i32 s24, s26, 1
	s_lshl_b32 s31, s25, 2
	s_sub_i32 s25, 0, s33
	s_add_u32 s38, s36, s38
	s_addc_u32 s39, s37, s39
	s_lshl_b64 s[36:37], s[8:9], 2
	s_mov_b32 s35, 0
	v_lshlrev_b32_e32 v3, 2, v1
	s_add_u32 s36, s38, s36
	s_addc_u32 s37, s39, s37
	s_lshl_b64 s[34:35], s[34:35], 2
	v_ashrrev_i32_e32 v2, 31, v1
	s_add_u32 s33, s33, s34
	v_add3_u32 v4, s31, v3, v7
	s_mul_i32 s31, s33, s19
	s_mul_hi_u32 s34, s33, s18
	s_addc_u32 s35, 0, s35
	s_add_i32 s31, s34, s31
	s_mul_i32 s35, s35, s18
	s_mul_i32 s33, s33, s18
	s_add_i32 s31, s31, s35
	s_add_u32 s33, s36, s33
	s_addc_u32 s31, s37, s31
	s_lshl_b64 s[34:35], s[22:23], 2
	v_lshlrev_b64 v[2:3], 2, v[1:2]
	s_add_u32 s33, s33, s34
	s_addc_u32 s31, s31, s35
	s_add_u32 s33, s20, s33
	s_addc_u32 s31, s21, s31
	s_lshl_b64 s[34:35], s[18:19], 2
	v_add_co_u32 v2, vcc_lo, s33, v2
	v_add_co_ci_u32_e64 v3, null, s31, v3, vcc_lo
	s_sub_u32 s31, 0, s34
	s_subb_u32 s33, 0, s35
.LBB2_11:                               ; =>This Inner Loop Header: Depth=1
	global_load_dword v5, v[2:3], off
	v_add_co_u32 v2, vcc_lo, v2, s31
	v_add_co_ci_u32_e64 v3, null, s33, v3, vcc_lo
	s_add_i32 s24, s24, -1
	s_cmp_gt_u32 s24, 1
	s_waitcnt vmcnt(0)
	ds_write_b32 v4, v5
	v_add_nc_u32_e32 v4, s25, v4
	s_cbranch_scc1 .LBB2_11
; %bb.12:
	s_mov_b32 s24, 0
.LBB2_13:
	s_and_b32 vcc_lo, exec_lo, s24
	s_cbranch_vccz .LBB2_16
; %bb.14:
	v_add_nc_u32_e32 v2, s26, v1
	s_lshl_b64 s[24:25], s[2:3], 2
	v_lshl_add_u32 v4, v1, 2, v7
	s_add_u32 s31, s20, s24
	s_addc_u32 s33, s21, s25
	v_ashrrev_i32_e32 v3, 31, v2
	s_lshl_b64 s[24:25], s[22:23], 2
	s_add_u32 s31, s31, s24
	s_addc_u32 s33, s33, s25
	s_lshl_b64 s[24:25], s[8:9], 2
	v_lshlrev_b64 v[2:3], 2, v[2:3]
	s_add_u32 s31, s31, s24
	s_addc_u32 s33, s33, s25
	s_lshl_b64 s[24:25], s[10:11], 2
	s_add_u32 s24, s31, s24
	s_addc_u32 s25, s33, s25
	v_add_co_u32 v2, vcc_lo, s24, v2
	v_add_co_ci_u32_e64 v3, null, s25, v3, vcc_lo
	s_lshl_b32 s31, s26, 2
	s_lshl_b64 s[24:25], s[18:19], 2
	s_mov_b32 s33, s26
.LBB2_15:                               ; =>This Inner Loop Header: Depth=1
	global_load_dword v5, v[2:3], off
	v_add_co_u32 v2, vcc_lo, v2, s24
	v_add_co_ci_u32_e64 v3, null, s25, v3, vcc_lo
	s_add_i32 s33, s33, -1
	s_cmp_eq_u32 s33, 0
	s_waitcnt vmcnt(0)
	ds_write_b32 v4, v5
	v_add_nc_u32_e32 v4, s31, v4
	s_cbranch_scc0 .LBB2_15
.LBB2_16:
	s_or_b32 exec_lo, exec_lo, s30
.LBB2_17:
	s_andn2_saveexec_b32 s6, s6
	s_cbranch_execz .LBB2_31
; %bb.18:
	v_mov_b32_e32 v2, 0
	v_mov_b32_e32 v3, 0
	s_and_saveexec_b32 s24, s0
; %bb.19:
	s_add_u32 s25, s18, 1
	s_addc_u32 s30, s19, 0
	s_mul_hi_u32 s31, s25, s26
	s_mul_i32 s30, s30, s26
	s_add_i32 s31, s31, s30
	s_mul_i32 s30, s25, s26
	v_mov_b32_e32 v2, s30
	v_mov_b32_e32 v3, s31
; %bb.20:
	s_or_b32 exec_lo, exec_lo, s24
	v_lshlrev_b64 v[3:4], 2, v[2:3]
	s_cmpk_lg_i32 s16, 0x7a
	s_mov_b32 s24, -1
	s_cbranch_scc0 .LBB2_26
; %bb.21:
	s_lshl_b64 s[24:25], s[10:11], 2
	s_lshl_b64 s[30:31], s[2:3], 2
	s_add_i32 s33, s26, -1
	s_add_u32 s30, s24, s30
	s_addc_u32 s31, s25, s31
	s_lshl_b64 s[24:25], s[8:9], 2
	s_mul_hi_u32 s34, s18, s33
	s_add_u32 s30, s30, s24
	s_mul_i32 s24, s19, s33
	s_addc_u32 s31, s31, s25
	s_add_i32 s25, s34, s24
	s_mul_i32 s24, s18, s33
	v_ashrrev_i32_e32 v2, 31, v1
	s_lshl_b64 s[24:25], s[24:25], 2
	v_sub_nc_u32_e32 v8, s33, v1
	s_add_u32 s30, s30, s24
	s_addc_u32 s31, s31, s25
	s_lshl_b64 s[24:25], s[22:23], 2
	v_lshlrev_b64 v[5:6], 2, v[1:2]
	s_add_u32 s24, s24, s30
	s_addc_u32 s25, s25, s31
	v_add_co_u32 v9, vcc_lo, s24, v3
	v_add_co_ci_u32_e64 v10, null, s25, v4, vcc_lo
	v_lshl_add_u32 v2, v8, 2, v7
	v_add_co_u32 v5, vcc_lo, v9, v5
	v_add_co_ci_u32_e64 v6, null, v10, v6, vcc_lo
	s_lshl_b64 s[24:25], s[18:19], 2
	v_add_co_u32 v5, vcc_lo, s20, v5
	v_add_co_ci_u32_e64 v6, null, s21, v6, vcc_lo
	s_sub_u32 s24, 0, s24
	s_subb_u32 s25, 0, s25
	s_lshl_b32 s30, s26, 2
	s_mov_b32 s31, s26
	s_branch .LBB2_23
	.p2align	6
.LBB2_22:                               ;   in Loop: Header=BB2_23 Depth=1
	s_or_b32 exec_lo, exec_lo, s33
	v_add_co_u32 v5, vcc_lo, v5, s24
	s_waitcnt vmcnt(0)
	ds_write_b32 v2, v8
	v_add_co_ci_u32_e64 v6, null, s25, v6, vcc_lo
	v_add_nc_u32_e32 v2, s30, v2
	s_cmp_lt_i32 s31, 1
	s_cbranch_scc1 .LBB2_25
.LBB2_23:                               ; =>This Inner Loop Header: Depth=1
	v_mov_b32_e32 v8, 0
	s_add_i32 s31, s31, -1
	s_mov_b32 s33, exec_lo
	v_cmpx_ge_i32_e64 s31, v1
	s_cbranch_execz .LBB2_22
; %bb.24:                               ;   in Loop: Header=BB2_23 Depth=1
	global_load_dword v8, v[5:6], off
	s_branch .LBB2_22
.LBB2_25:
	s_mov_b32 s24, 0
.LBB2_26:
	s_and_b32 vcc_lo, exec_lo, s24
	s_cbranch_vccz .LBB2_31
; %bb.27:
	s_lshl_b64 s[10:11], s[10:11], 2
	s_lshl_b64 s[2:3], s[2:3], 2
	v_ashrrev_i32_e32 v2, 31, v1
	s_add_u32 s10, s10, s2
	s_addc_u32 s11, s11, s3
	s_lshl_b64 s[2:3], s[8:9], 2
	s_add_u32 s8, s10, s2
	s_addc_u32 s9, s11, s3
	s_lshl_b64 s[2:3], s[22:23], 2
	v_lshlrev_b64 v[5:6], 2, v[1:2]
	s_add_u32 s2, s2, s8
	s_addc_u32 s3, s3, s9
	v_add_co_u32 v2, vcc_lo, s2, v3
	v_add_co_ci_u32_e64 v3, null, s3, v4, vcc_lo
	v_lshl_add_u32 v4, v1, 2, v7
	v_add_co_u32 v2, vcc_lo, v2, v5
	v_add_co_ci_u32_e64 v3, null, v3, v6, vcc_lo
	s_lshl_b64 s[2:3], s[18:19], 2
	v_add_co_u32 v2, vcc_lo, s20, v2
	v_add_co_ci_u32_e64 v3, null, s21, v3, vcc_lo
	s_lshl_b32 s8, s26, 2
	s_mov_b32 s9, 0
	s_branch .LBB2_29
	.p2align	6
.LBB2_28:                               ;   in Loop: Header=BB2_29 Depth=1
	s_or_b32 exec_lo, exec_lo, s10
	v_add_co_u32 v2, vcc_lo, v2, s2
	s_waitcnt vmcnt(0)
	ds_write_b32 v4, v5
	v_add_co_ci_u32_e64 v3, null, s3, v3, vcc_lo
	v_add_nc_u32_e32 v4, s8, v4
	s_add_i32 s9, s9, 1
	s_cmp_eq_u32 s26, s9
	s_cbranch_scc1 .LBB2_31
.LBB2_29:                               ; =>This Inner Loop Header: Depth=1
	v_mov_b32_e32 v5, 0
	s_mov_b32 s10, exec_lo
	v_cmpx_le_i32_e64 s9, v1
	s_cbranch_execz .LBB2_28
; %bb.30:                               ;   in Loop: Header=BB2_29 Depth=1
	global_load_dword v5, v[2:3], off
	s_branch .LBB2_28
.LBB2_31:
	s_or_b32 exec_lo, exec_lo, s6
	s_waitcnt lgkmcnt(0)
	s_barrier
	buffer_gl0_inv
	s_and_saveexec_b32 s2, s1
	s_cbranch_execz .LBB2_37
; %bb.32:
	s_add_i32 s3, s26, 1
	v_mov_b32_e32 v4, 1.0
	v_mul_i32_i24_e32 v2, s3, v1
	s_cmpk_eq_i32 s17, 0x84
	v_lshl_add_u32 v2, v2, 2, v7
	s_cbranch_scc1 .LBB2_36
; %bb.33:
	ds_read_b32 v3, v2
	v_mov_b32_e32 v4, 1.0
	s_mov_b32 s3, exec_lo
	s_waitcnt lgkmcnt(0)
	v_cmpx_neq_f32_e32 0, v3
	s_cbranch_execz .LBB2_35
; %bb.34:
	v_div_scale_f32 v4, null, v3, v3, 1.0
	v_rcp_f32_e32 v5, v4
	v_fma_f32 v6, -v4, v5, 1.0
	v_fmac_f32_e32 v5, v6, v5
	v_div_scale_f32 v6, vcc_lo, 1.0, v3, 1.0
	v_mul_f32_e32 v8, v6, v5
	v_fma_f32 v9, -v4, v8, v6
	v_fmac_f32_e32 v8, v9, v5
	v_fma_f32 v4, -v4, v8, v6
	v_div_fmas_f32 v4, v4, v5, v8
	v_div_fixup_f32 v4, v4, v3, 1.0
.LBB2_35:
	s_or_b32 exec_lo, exec_lo, s3
.LBB2_36:
	ds_write_b32 v2, v4
.LBB2_37:
	s_or_b32 exec_lo, exec_lo, s2
	s_waitcnt lgkmcnt(0)
	s_barrier
	buffer_gl0_inv
	s_and_saveexec_b32 s2, s1
	s_cbranch_execz .LBB2_49
; %bb.38:
	s_add_i32 s3, s26, 1
	v_lshlrev_b32_e32 v5, 2, v1
	v_mul_i32_i24_e32 v4, s3, v1
	s_lshl_b32 s3, s26, 2
	v_add_nc_u32_e32 v2, 4, v7
	s_add_i32 s6, s3, 4
	v_add_nc_u32_e32 v3, v7, v5
	v_lshl_add_u32 v4, v4, 2, v7
	v_add3_u32 v5, v5, s3, v7
	s_mov_b32 s8, 0
	s_branch .LBB2_40
.LBB2_39:                               ;   in Loop: Header=BB2_40 Depth=1
	s_inst_prefetch 0x2
	v_add_nc_u32_e32 v2, s6, v2
	v_add_nc_u32_e32 v5, s3, v5
	s_cmp_eq_u32 s8, s26
	s_cbranch_scc1 .LBB2_49
.LBB2_40:                               ; =>This Loop Header: Depth=1
                                        ;     Child Loop BB2_45 Depth 2
	v_mov_b32_e32 v6, 0
	s_mul_i32 s9, s8, s26
	s_mov_b32 s10, exec_lo
	v_cmpx_lt_i32_e64 s8, v1
	s_cbranch_execz .LBB2_42
; %bb.41:                               ;   in Loop: Header=BB2_40 Depth=1
	s_lshl_b32 s11, s9, 2
	s_lshl_b32 s17, s8, 2
	v_add_nc_u32_e32 v6, s11, v3
	v_add3_u32 v8, s11, s17, v7
	ds_read_b32 v6, v6
	ds_read_b32 v8, v8
	s_waitcnt lgkmcnt(0)
	v_fma_f32 v6, v6, v8, 0
.LBB2_42:                               ;   in Loop: Header=BB2_40 Depth=1
	s_or_b32 exec_lo, exec_lo, s10
	s_add_i32 s8, s8, 1
	s_cmp_ge_u32 s8, s26
	s_cbranch_scc1 .LBB2_39
; %bb.43:                               ;   in Loop: Header=BB2_40 Depth=1
	v_lshl_add_u32 v8, s9, 2, v3
	v_mov_b32_e32 v9, v5
	v_mov_b32_e32 v10, v2
	s_mov_b32 s9, s8
	s_inst_prefetch 0x1
	s_branch .LBB2_45
	.p2align	6
.LBB2_44:                               ;   in Loop: Header=BB2_45 Depth=2
	s_or_b32 exec_lo, exec_lo, s10
	v_add_nc_u32_e32 v10, 4, v10
	v_add_nc_u32_e32 v9, s3, v9
	s_add_i32 s9, s9, 1
	s_cmp_eq_u32 s26, s9
	s_cbranch_scc1 .LBB2_39
.LBB2_45:                               ;   Parent Loop BB2_40 Depth=1
                                        ; =>  This Inner Loop Header: Depth=2
	s_mov_b32 s10, exec_lo
	v_cmpx_eq_u32_e64 s9, v1
	s_cbranch_execz .LBB2_47
; %bb.46:                               ;   in Loop: Header=BB2_45 Depth=2
	ds_read_b32 v11, v4
	s_waitcnt lgkmcnt(0)
	v_mul_f32_e64 v11, -v6, v11
	ds_write_b32 v8, v11
.LBB2_47:                               ;   in Loop: Header=BB2_45 Depth=2
	s_or_b32 exec_lo, exec_lo, s10
	s_mov_b32 s10, exec_lo
	v_cmpx_lt_i32_e64 s9, v1
	s_cbranch_execz .LBB2_44
; %bb.48:                               ;   in Loop: Header=BB2_45 Depth=2
	ds_read_b32 v11, v9
	ds_read_b32 v12, v10
	s_waitcnt lgkmcnt(0)
	v_fmac_f32_e32 v6, v11, v12
	s_branch .LBB2_44
.LBB2_49:
	s_or_b32 exec_lo, exec_lo, s2
	s_and_b32 s2, s26, 0xffff
	v_cvt_f32_ubyte0_e32 v4, v0
	v_cvt_f32_u32_e32 v2, s2
	s_mul_i32 s2, s26, s26
	s_cmpk_lg_i32 s16, 0x7a
	v_cmp_gt_u32_e64 s2, s2, v0
	s_cselect_b32 s3, -1, 0
	v_rcp_iflag_f32_e32 v3, v2
	s_mov_b32 s6, -1
	s_waitcnt lgkmcnt(0)
	s_barrier
	buffer_gl0_inv
	v_mul_f32_e32 v3, v4, v3
	v_trunc_f32_e32 v3, v3
	v_fma_f32 v4, -v3, v2, v4
	v_cvt_u32_f32_e32 v3, v3
	v_cmp_ge_f32_e64 vcc_lo, |v4|, v2
	v_add_co_ci_u32_e64 v2, null, 0, v3, vcc_lo
	s_and_b32 vcc_lo, exec_lo, s3
	v_mul_lo_u16 v3, v2, s26
	v_and_b32_e32 v2, 0xffff, v2
	v_sub_nc_u16 v3, v0, v3
	v_and_b32_e32 v0, 0xffff, v3
	s_cbranch_vccz .LBB2_55
; %bb.50:
	s_and_saveexec_b32 s6, s2
	s_cbranch_execz .LBB2_54
; %bb.51:
	v_lshlrev_b32_e32 v3, 6, v2
	v_lshlrev_b32_e32 v5, 2, v0
	v_mov_b32_e32 v4, 0
	s_mov_b32 s9, -1
	s_mov_b32 s8, 0
	v_sub_nc_u32_e32 v6, 0xffc, v3
.LBB2_52:                               ; =>This Inner Loop Header: Depth=1
	ds_read_b32 v8, v5
	ds_read_b32 v9, v6
	s_add_i32 s9, s9, 1
	v_add_nc_u32_e32 v6, -4, v6
	v_cmp_ge_u32_e32 vcc_lo, s9, v2
	v_add_nc_u32_e32 v5, 64, v5
	s_or_b32 s8, vcc_lo, s8
	s_waitcnt lgkmcnt(0)
	v_fmac_f32_e32 v4, v8, v9
	s_andn2_b32 exec_lo, exec_lo, s8
	s_cbranch_execnz .LBB2_52
; %bb.53:
	s_or_b32 exec_lo, exec_lo, s8
	v_lshl_add_u32 v3, v0, 2, v3
	ds_write_b32 v3, v4 offset:1024
.LBB2_54:
	s_or_b32 exec_lo, exec_lo, s6
	s_mov_b32 s6, 0
.LBB2_55:
	s_andn2_b32 vcc_lo, exec_lo, s6
	s_cbranch_vccnz .LBB2_65
; %bb.56:
	s_and_saveexec_b32 s6, s2
	s_cbranch_execz .LBB2_64
; %bb.57:
	v_lshlrev_b32_e32 v3, 6, v2
	s_mov_b32 s8, exec_lo
	v_cmpx_lt_u16_e32 15, v2
	s_xor_b32 s8, exec_lo, s8
; %bb.58:
	v_lshlrev_b32_e32 v3, 6, v2
; %bb.59:
	s_or_saveexec_b32 s8, s8
	v_mov_b32_e32 v4, 0
	s_xor_b32 exec_lo, exec_lo, s8
	s_cbranch_execz .LBB2_63
; %bb.60:
	s_movk_i32 s9, 0x44
	v_add_nc_u32_e32 v5, -1, v2
	v_mad_u32_u24 v6, v2, s9, 0x800
	v_lshl_add_u32 v8, v0, 2, v3
	v_mov_b32_e32 v4, 0
	s_mov_b32 s9, 0
.LBB2_61:                               ; =>This Inner Loop Header: Depth=1
	ds_read_b32 v9, v8
	ds_read_b32 v10, v6
	v_add_nc_u32_e32 v5, 1, v5
	v_add_nc_u32_e32 v6, 4, v6
	;; [unrolled: 1-line block ×3, first 2 shown]
	v_cmp_lt_u32_e32 vcc_lo, 14, v5
	s_or_b32 s9, vcc_lo, s9
	s_waitcnt lgkmcnt(0)
	v_fmac_f32_e32 v4, v9, v10
	s_andn2_b32 exec_lo, exec_lo, s9
	s_cbranch_execnz .LBB2_61
; %bb.62:
	s_or_b32 exec_lo, exec_lo, s9
.LBB2_63:
	s_or_b32 exec_lo, exec_lo, s8
	v_lshl_add_u32 v3, v0, 2, v3
	ds_write_b32 v3, v4 offset:1024
.LBB2_64:
	s_or_b32 exec_lo, exec_lo, s6
.LBB2_65:
	s_clause 0x1
	s_load_dwordx4 s[8:11], s[4:5], 0x50
	s_load_dword s4, s[4:5], 0x48
	s_waitcnt lgkmcnt(0)
	s_barrier
	buffer_gl0_inv
	s_mul_i32 s5, s9, s7
	s_mul_hi_u32 s9, s8, s7
	s_mul_i32 s6, s8, s7
	s_add_i32 s7, s9, s5
	s_ashr_i32 s5, s4, 31
	s_lshl_b64 s[8:9], s[6:7], 2
	s_mul_i32 s11, s11, s28
	s_add_u32 s16, s12, s8
	s_addc_u32 s17, s13, s9
	s_lshl_b64 s[6:7], s[14:15], 2
	s_add_u32 s16, s16, s6
	s_addc_u32 s17, s17, s7
	s_lshl_b64 s[14:15], s[4:5], 5
	s_add_u32 s14, s14, 32
	s_addc_u32 s15, s15, 0
	s_mul_hi_u32 s18, s14, s29
	s_mul_i32 s15, s15, s29
	s_mul_i32 s14, s14, s29
	s_add_i32 s15, s18, s15
	s_mul_hi_u32 s18, s10, s28
	s_lshl_b64 s[14:15], s[14:15], 2
	s_mul_i32 s10, s10, s28
	s_add_u32 s16, s16, s14
	s_addc_u32 s17, s17, s15
	s_add_i32 s11, s18, s11
	s_mov_b32 s18, -1
	s_lshl_b64 s[10:11], s[10:11], 2
	s_add_u32 s16, s16, s10
	s_addc_u32 s17, s17, s11
	s_and_b32 vcc_lo, exec_lo, s3
	s_cbranch_vccnz .LBB2_68
; %bb.66:
	s_andn2_b32 vcc_lo, exec_lo, s18
	s_cbranch_vccz .LBB2_73
.LBB2_67:
	s_and_saveexec_b32 s2, s1
	s_cbranch_execnz .LBB2_78
	s_branch .LBB2_89
.LBB2_68:
	s_and_saveexec_b32 s18, s2
	s_cbranch_execz .LBB2_72
; %bb.69:
	v_lshlrev_b32_e32 v3, 2, v0
	s_lshl_b32 s20, s26, 2
	v_mul_u32_u24_e32 v5, s26, v2
	s_mov_b32 s19, 0
	v_sub_nc_u32_e32 v4, s20, v3
	s_sub_i32 s20, 0, s20
	v_lshlrev_b32_e32 v6, 2, v5
	v_add_nc_u32_e32 v5, -1, v0
	v_mul_i32_i24_e32 v4, s26, v4
	v_add3_u32 v6, v6, v3, 0x400
	v_sub_nc_u32_e32 v4, v4, v3
	v_add_nc_u32_e32 v8, 0x7fc, v4
	v_mov_b32_e32 v4, 0
.LBB2_70:                               ; =>This Inner Loop Header: Depth=1
	ds_read_b32 v9, v8
	ds_read_b32 v10, v6
	v_add_nc_u32_e32 v5, 1, v5
	v_add_nc_u32_e32 v6, 4, v6
	;; [unrolled: 1-line block ×3, first 2 shown]
	v_cmp_lt_u32_e32 vcc_lo, 14, v5
	s_or_b32 s19, vcc_lo, s19
	s_waitcnt lgkmcnt(0)
	v_fma_f32 v4, -v9, v10, v4
	s_andn2_b32 exec_lo, exec_lo, s19
	s_cbranch_execnz .LBB2_70
; %bb.71:
	s_or_b32 exec_lo, exec_lo, s19
	v_mad_i64_i32 v[5:6], null, v2, s4, 0
	s_mul_hi_i32 s21, s26, s4
	s_mul_i32 s20, s26, s4
	s_lshl_b64 s[20:21], s[20:21], 2
	s_add_u32 s19, s16, s20
	v_lshlrev_b64 v[5:6], 2, v[5:6]
	s_addc_u32 s20, s17, s21
	v_add_co_u32 v3, s19, s19, v3
	v_add_co_ci_u32_e64 v8, null, s20, 0, s19
	v_add_co_u32 v5, vcc_lo, v3, v5
	v_add_co_ci_u32_e64 v6, null, v8, v6, vcc_lo
	global_store_dword v[5:6], v4, off
.LBB2_72:
	s_or_b32 exec_lo, exec_lo, s18
	s_cbranch_execnz .LBB2_67
.LBB2_73:
	s_and_saveexec_b32 s18, s2
	s_cbranch_execz .LBB2_77
; %bb.74:
	v_mul_u32_u24_e32 v3, s26, v2
	v_lshl_add_u32 v4, v0, 2, 0xc00
	s_lshl_b32 s2, s26, 2
	s_mov_b32 s20, -1
	s_mov_b32 s19, 0
	v_lshl_add_u32 v5, v3, 2, 0x400
	v_mov_b32_e32 v3, 0
.LBB2_75:                               ; =>This Inner Loop Header: Depth=1
	ds_read_b32 v6, v4
	ds_read_b32 v8, v5
	s_add_i32 s20, s20, 1
	v_add_nc_u32_e32 v5, 4, v5
	v_cmp_ge_u32_e32 vcc_lo, s20, v0
	v_add_nc_u32_e32 v4, s2, v4
	s_or_b32 s19, vcc_lo, s19
	s_waitcnt lgkmcnt(0)
	v_fma_f32 v3, -v6, v8, v3
	s_andn2_b32 exec_lo, exec_lo, s19
	s_cbranch_execnz .LBB2_75
; %bb.76:
	s_or_b32 exec_lo, exec_lo, s19
	v_mad_i64_i32 v[4:5], null, v2, s4, 0
	v_add_lshl_u32 v0, s26, v0, 2
	v_lshlrev_b64 v[4:5], 2, v[4:5]
	v_add_co_u32 v2, vcc_lo, s16, v4
	v_add_co_ci_u32_e64 v5, null, s17, v5, vcc_lo
	v_add_co_u32 v4, vcc_lo, v2, v0
	v_add_co_ci_u32_e64 v5, null, 0, v5, vcc_lo
	global_store_dword v[4:5], v3, off
.LBB2_77:
	s_or_b32 exec_lo, exec_lo, s18
	s_and_saveexec_b32 s2, s1
	s_cbranch_execz .LBB2_89
.LBB2_78:
	v_mov_b32_e32 v3, 0
	v_mov_b32_e32 v4, 0
	s_and_saveexec_b32 s1, s0
	s_cbranch_execnz .LBB2_81
; %bb.79:
	s_or_b32 exec_lo, exec_lo, s1
	s_and_b32 vcc_lo, exec_lo, s3
	s_mov_b32 s0, -1
	s_cbranch_vccnz .LBB2_82
.LBB2_80:
	s_andn2_b32 vcc_lo, exec_lo, s0
	s_cbranch_vccz .LBB2_86
	s_branch .LBB2_89
.LBB2_81:
	s_add_u32 s0, s4, 1
	s_addc_u32 s2, s5, 0
	s_mul_hi_u32 s18, s0, s26
	s_mul_i32 s2, s2, s26
	s_add_i32 s19, s18, s2
	s_mul_i32 s18, s0, s26
	v_mov_b32_e32 v3, s18
	v_mov_b32_e32 v4, s19
	s_or_b32 exec_lo, exec_lo, s1
	s_and_b32 vcc_lo, exec_lo, s3
	s_mov_b32 s0, -1
	s_cbranch_vccz .LBB2_80
.LBB2_82:
	s_mov_b32 s1, exec_lo
	v_cmpx_gt_i32_e64 s26, v1
	s_cbranch_execz .LBB2_85
; %bb.83:
	s_cmp_lt_u32 s27, 16
	v_ashrrev_i32_e32 v2, 31, v1
	s_cselect_b32 s0, s27, 16
	s_cselect_b32 s2, 0, 0
	s_add_u32 s0, s0, -1
	s_addc_u32 s2, s2, -1
	s_mul_i32 s3, s0, s5
	s_mul_hi_u32 s18, s0, s4
	s_mul_i32 s2, s2, s4
	s_add_i32 s3, s18, s3
	v_lshlrev_b64 v[5:6], 2, v[3:4]
	s_add_i32 s3, s3, s2
	s_mul_i32 s2, s0, s4
	v_lshlrev_b64 v[8:9], 2, v[1:2]
	s_lshl_b64 s[2:3], s[2:3], 2
	v_xad_u32 v0, v1, -1, s26
	s_add_u32 s0, s2, s10
	s_addc_u32 s2, s3, s11
	s_add_u32 s0, s0, s8
	s_addc_u32 s2, s2, s9
	;; [unrolled: 2-line block ×4, first 2 shown]
	v_add_co_u32 v2, vcc_lo, s0, v5
	v_add_co_ci_u32_e64 v5, null, s2, v6, vcc_lo
	v_lshl_add_u32 v0, v0, 2, v7
	v_add_co_u32 v2, vcc_lo, v2, v8
	v_add_co_ci_u32_e64 v6, null, v5, v9, vcc_lo
	s_lshl_b64 s[6:7], s[4:5], 2
	v_add_co_u32 v5, vcc_lo, s12, v2
	v_add_co_ci_u32_e64 v6, null, s13, v6, vcc_lo
	s_sub_u32 s3, 0, s6
	s_mov_b32 s2, 0
	s_subb_u32 s6, 0, s7
	s_lshl_b32 s7, s26, 2
	s_mov_b32 s8, s26
.LBB2_84:                               ; =>This Inner Loop Header: Depth=1
	ds_read_b32 v2, v0
	s_add_i32 s8, s8, -1
	v_add_nc_u32_e32 v0, s7, v0
	v_cmp_le_i32_e32 vcc_lo, s8, v1
	s_or_b32 s2, vcc_lo, s2
	s_waitcnt lgkmcnt(0)
	global_store_dword v[5:6], v2, off
	v_add_co_u32 v5, s0, v5, s3
	v_add_co_ci_u32_e64 v6, null, s6, v6, s0
	s_andn2_b32 exec_lo, exec_lo, s2
	s_cbranch_execnz .LBB2_84
.LBB2_85:
	s_or_b32 exec_lo, exec_lo, s1
	s_cbranch_execnz .LBB2_89
.LBB2_86:
	v_cmp_lt_i32_e32 vcc_lo, -1, v1
	s_and_b32 exec_lo, exec_lo, vcc_lo
	s_cbranch_execz .LBB2_89
; %bb.87:
	v_mov_b32_e32 v2, 0
	v_lshlrev_b64 v[3:4], 2, v[3:4]
	v_lshl_add_u32 v0, v1, 2, v7
	s_lshl_b64 s[2:3], s[4:5], 2
	s_lshl_b32 s1, s26, 2
	v_lshlrev_b64 v[5:6], 2, v[1:2]
	v_add_nc_u32_e32 v1, 1, v1
	v_add_co_u32 v2, vcc_lo, s16, v3
	v_add_co_ci_u32_e64 v3, null, s17, v4, vcc_lo
	s_mov_b32 s4, 0
	v_add_co_u32 v2, vcc_lo, v2, v5
	v_add_co_ci_u32_e64 v3, null, v3, v6, vcc_lo
.LBB2_88:                               ; =>This Inner Loop Header: Depth=1
	ds_read_b32 v4, v0
	v_add_nc_u32_e32 v1, -1, v1
	v_add_nc_u32_e32 v0, s1, v0
	v_cmp_eq_u32_e32 vcc_lo, 0, v1
	s_or_b32 s4, vcc_lo, s4
	s_waitcnt lgkmcnt(0)
	global_store_dword v[2:3], v4, off
	v_add_co_u32 v2, s0, v2, s2
	v_add_co_ci_u32_e64 v3, null, s3, v3, s0
	s_andn2_b32 exec_lo, exec_lo, s4
	s_cbranch_execnz .LBB2_88
.LBB2_89:
	s_endpgm
	.section	.rodata,"a",@progbits
	.p2align	6, 0x0
	.amdhsa_kernel _ZL29rocblas_trtri_diagonal_kernelILi16EfPKfPfEv13rocblas_fill_17rocblas_diagonal_iT1_lillT2_lilli
		.amdhsa_group_segment_fixed_size 4096
		.amdhsa_private_segment_fixed_size 0
		.amdhsa_kernarg_size 100
		.amdhsa_user_sgpr_count 6
		.amdhsa_user_sgpr_private_segment_buffer 1
		.amdhsa_user_sgpr_dispatch_ptr 0
		.amdhsa_user_sgpr_queue_ptr 0
		.amdhsa_user_sgpr_kernarg_segment_ptr 1
		.amdhsa_user_sgpr_dispatch_id 0
		.amdhsa_user_sgpr_flat_scratch_init 0
		.amdhsa_user_sgpr_private_segment_size 0
		.amdhsa_wavefront_size32 1
		.amdhsa_uses_dynamic_stack 0
		.amdhsa_system_sgpr_private_segment_wavefront_offset 0
		.amdhsa_system_sgpr_workgroup_id_x 1
		.amdhsa_system_sgpr_workgroup_id_y 0
		.amdhsa_system_sgpr_workgroup_id_z 1
		.amdhsa_system_sgpr_workgroup_info 0
		.amdhsa_system_vgpr_workitem_id 0
		.amdhsa_next_free_vgpr 13
		.amdhsa_next_free_sgpr 40
		.amdhsa_reserve_vcc 1
		.amdhsa_reserve_flat_scratch 0
		.amdhsa_float_round_mode_32 0
		.amdhsa_float_round_mode_16_64 0
		.amdhsa_float_denorm_mode_32 3
		.amdhsa_float_denorm_mode_16_64 3
		.amdhsa_dx10_clamp 1
		.amdhsa_ieee_mode 1
		.amdhsa_fp16_overflow 0
		.amdhsa_workgroup_processor_mode 1
		.amdhsa_memory_ordered 1
		.amdhsa_forward_progress 1
		.amdhsa_shared_vgpr_count 0
		.amdhsa_exception_fp_ieee_invalid_op 0
		.amdhsa_exception_fp_denorm_src 0
		.amdhsa_exception_fp_ieee_div_zero 0
		.amdhsa_exception_fp_ieee_overflow 0
		.amdhsa_exception_fp_ieee_underflow 0
		.amdhsa_exception_fp_ieee_inexact 0
		.amdhsa_exception_int_div_zero 0
	.end_amdhsa_kernel
	.section	.text._ZL29rocblas_trtri_diagonal_kernelILi16EfPKfPfEv13rocblas_fill_17rocblas_diagonal_iT1_lillT2_lilli,"axG",@progbits,_ZL29rocblas_trtri_diagonal_kernelILi16EfPKfPfEv13rocblas_fill_17rocblas_diagonal_iT1_lillT2_lilli,comdat
.Lfunc_end2:
	.size	_ZL29rocblas_trtri_diagonal_kernelILi16EfPKfPfEv13rocblas_fill_17rocblas_diagonal_iT1_lillT2_lilli, .Lfunc_end2-_ZL29rocblas_trtri_diagonal_kernelILi16EfPKfPfEv13rocblas_fill_17rocblas_diagonal_iT1_lillT2_lilli
                                        ; -- End function
	.set _ZL29rocblas_trtri_diagonal_kernelILi16EfPKfPfEv13rocblas_fill_17rocblas_diagonal_iT1_lillT2_lilli.num_vgpr, 13
	.set _ZL29rocblas_trtri_diagonal_kernelILi16EfPKfPfEv13rocblas_fill_17rocblas_diagonal_iT1_lillT2_lilli.num_agpr, 0
	.set _ZL29rocblas_trtri_diagonal_kernelILi16EfPKfPfEv13rocblas_fill_17rocblas_diagonal_iT1_lillT2_lilli.numbered_sgpr, 40
	.set _ZL29rocblas_trtri_diagonal_kernelILi16EfPKfPfEv13rocblas_fill_17rocblas_diagonal_iT1_lillT2_lilli.num_named_barrier, 0
	.set _ZL29rocblas_trtri_diagonal_kernelILi16EfPKfPfEv13rocblas_fill_17rocblas_diagonal_iT1_lillT2_lilli.private_seg_size, 0
	.set _ZL29rocblas_trtri_diagonal_kernelILi16EfPKfPfEv13rocblas_fill_17rocblas_diagonal_iT1_lillT2_lilli.uses_vcc, 1
	.set _ZL29rocblas_trtri_diagonal_kernelILi16EfPKfPfEv13rocblas_fill_17rocblas_diagonal_iT1_lillT2_lilli.uses_flat_scratch, 0
	.set _ZL29rocblas_trtri_diagonal_kernelILi16EfPKfPfEv13rocblas_fill_17rocblas_diagonal_iT1_lillT2_lilli.has_dyn_sized_stack, 0
	.set _ZL29rocblas_trtri_diagonal_kernelILi16EfPKfPfEv13rocblas_fill_17rocblas_diagonal_iT1_lillT2_lilli.has_recursion, 0
	.set _ZL29rocblas_trtri_diagonal_kernelILi16EfPKfPfEv13rocblas_fill_17rocblas_diagonal_iT1_lillT2_lilli.has_indirect_call, 0
	.section	.AMDGPU.csdata,"",@progbits
; Kernel info:
; codeLenInByte = 3432
; TotalNumSgprs: 42
; NumVgprs: 13
; ScratchSize: 0
; MemoryBound: 0
; FloatMode: 240
; IeeeMode: 1
; LDSByteSize: 4096 bytes/workgroup (compile time only)
; SGPRBlocks: 0
; VGPRBlocks: 1
; NumSGPRsForWavesPerEU: 42
; NumVGPRsForWavesPerEU: 13
; Occupancy: 16
; WaveLimiterHint : 0
; COMPUTE_PGM_RSRC2:SCRATCH_EN: 0
; COMPUTE_PGM_RSRC2:USER_SGPR: 6
; COMPUTE_PGM_RSRC2:TRAP_HANDLER: 0
; COMPUTE_PGM_RSRC2:TGID_X_EN: 1
; COMPUTE_PGM_RSRC2:TGID_Y_EN: 0
; COMPUTE_PGM_RSRC2:TGID_Z_EN: 1
; COMPUTE_PGM_RSRC2:TIDIG_COMP_CNT: 0
	.section	.text._ZL30rocblas_trtri_remainder_kernelILi16EfPKfPfEv13rocblas_fill_17rocblas_diagonal_iT1_lillT2_lilli,"axG",@progbits,_ZL30rocblas_trtri_remainder_kernelILi16EfPKfPfEv13rocblas_fill_17rocblas_diagonal_iT1_lillT2_lilli,comdat
	.globl	_ZL30rocblas_trtri_remainder_kernelILi16EfPKfPfEv13rocblas_fill_17rocblas_diagonal_iT1_lillT2_lilli ; -- Begin function _ZL30rocblas_trtri_remainder_kernelILi16EfPKfPfEv13rocblas_fill_17rocblas_diagonal_iT1_lillT2_lilli
	.p2align	8
	.type	_ZL30rocblas_trtri_remainder_kernelILi16EfPKfPfEv13rocblas_fill_17rocblas_diagonal_iT1_lillT2_lilli,@function
_ZL30rocblas_trtri_remainder_kernelILi16EfPKfPfEv13rocblas_fill_17rocblas_diagonal_iT1_lillT2_lilli: ; @_ZL30rocblas_trtri_remainder_kernelILi16EfPKfPfEv13rocblas_fill_17rocblas_diagonal_iT1_lillT2_lilli
; %bb.0:
	s_load_dwordx4 s[16:19], s[4:5], 0x0
	s_waitcnt lgkmcnt(0)
	s_cmp_lt_i32 s18, 1
	s_cbranch_scc1 .LBB3_36
; %bb.1:
	s_load_dwordx8 s[8:15], s[4:5], 0x28
	v_cmp_le_u32_e64 s1, s18, v0
	v_cmp_gt_u32_e64 s0, s18, v0
	s_and_saveexec_b32 s3, s0
	s_cbranch_execz .LBB3_9
; %bb.2:
	s_clause 0x1
	s_load_dwordx4 s[20:23], s[4:5], 0x10
	s_load_dword s24, s[4:5], 0x20
	s_waitcnt lgkmcnt(0)
	s_mul_i32 s2, s9, s7
	s_mul_hi_u32 s9, s8, s7
	s_mul_i32 s8, s8, s7
	s_add_i32 s9, s9, s2
	s_mul_i32 s2, s11, s6
	s_mul_hi_u32 s11, s10, s6
	s_mul_i32 s10, s10, s6
	s_add_i32 s11, s11, s2
	s_cmpk_lg_i32 s16, 0x7a
	s_mov_b32 s2, -1
	s_cbranch_scc0 .LBB3_6
; %bb.3:
	s_add_i32 s2, s18, -1
	s_ashr_i32 s25, s24, 31
	s_lshl_b64 s[26:27], s[10:11], 2
	s_lshl_b64 s[28:29], s[8:9], 2
	s_lshl_b32 s19, s18, 2
	s_add_u32 s28, s26, s28
	s_mul_i32 s26, s25, s2
	s_mul_hi_u32 s30, s24, s2
	s_addc_u32 s29, s27, s29
	s_add_i32 s27, s30, s26
	s_mul_i32 s26, s24, s2
	v_sub_nc_u32_e32 v1, s2, v0
	s_lshl_b64 s[26:27], s[26:27], 2
	s_add_u32 s2, s28, s26
	s_addc_u32 s28, s29, s27
	s_lshl_b64 s[26:27], s[22:23], 2
	v_lshlrev_b32_e32 v3, 2, v1
	v_lshlrev_b32_e32 v1, 2, v0
	s_add_u32 s2, s2, s26
	s_addc_u32 s26, s28, s27
	s_add_u32 s2, s20, s2
	s_addc_u32 s28, s21, s26
	v_add_co_u32 v1, s2, s2, v1
	s_lshl_b64 s[26:27], s[24:25], 2
	v_add_co_ci_u32_e64 v2, null, s28, 0, s2
	s_sub_u32 s25, 0, s26
	s_subb_u32 s27, 0, s27
	s_mov_b32 s26, 0
	s_mov_b32 s28, s18
.LBB3_4:                                ; =>This Inner Loop Header: Depth=1
	global_load_dword v4, v[1:2], off
	s_add_i32 s28, s28, -1
	v_add_co_u32 v1, vcc_lo, v1, s25
	v_cmp_le_u32_e64 s2, s28, v0
	v_add_co_ci_u32_e64 v2, null, s27, v2, vcc_lo
	s_or_b32 s26, s2, s26
	s_waitcnt vmcnt(0)
	ds_write_b32 v3, v4
	v_add_nc_u32_e32 v3, s19, v3
	s_andn2_b32 exec_lo, exec_lo, s26
	s_cbranch_execnz .LBB3_4
; %bb.5:
	s_or_b32 exec_lo, exec_lo, s26
	s_mov_b32 s2, 0
.LBB3_6:
	s_and_b32 vcc_lo, exec_lo, s2
	s_cbranch_vccz .LBB3_9
; %bb.7:
	s_lshl_b64 s[8:9], s[8:9], 2
	v_lshlrev_b32_e32 v3, 2, v0
	s_add_u32 s2, s20, s8
	s_addc_u32 s19, s21, s9
	s_lshl_b64 s[8:9], s[22:23], 2
	v_add_nc_u32_e32 v4, 1, v0
	s_add_u32 s2, s2, s8
	s_addc_u32 s19, s19, s9
	s_lshl_b64 s[8:9], s[10:11], 2
	s_mov_b32 s11, 0
	s_add_u32 s2, s2, s8
	s_addc_u32 s8, s19, s9
	v_add_co_u32 v1, s2, s2, v3
	v_add_co_ci_u32_e64 v2, null, s8, 0, s2
	s_ashr_i32 s25, s24, 31
	s_lshl_b32 s10, s18, 2
	s_lshl_b64 s[8:9], s[24:25], 2
.LBB3_8:                                ; =>This Inner Loop Header: Depth=1
	global_load_dword v5, v[1:2], off
	v_add_nc_u32_e32 v4, -1, v4
	v_add_co_u32 v1, vcc_lo, v1, s8
	v_add_co_ci_u32_e64 v2, null, s9, v2, vcc_lo
	v_cmp_eq_u32_e64 s2, 0, v4
	s_or_b32 s11, s2, s11
	s_waitcnt vmcnt(0)
	ds_write_b32 v3, v5
	v_add_nc_u32_e32 v3, s10, v3
	s_andn2_b32 exec_lo, exec_lo, s11
	s_cbranch_execnz .LBB3_8
.LBB3_9:
	s_or_b32 exec_lo, exec_lo, s3
	s_waitcnt lgkmcnt(0)
	s_barrier
	buffer_gl0_inv
                                        ; implicit-def: $vgpr1
	s_and_saveexec_b32 s2, s1
	s_xor_b32 s1, exec_lo, s2
; %bb.10:
	v_mad_u64_u32 v[1:2], null, v0, s18, v[0:1]
; %bb.11:
	s_andn2_saveexec_b32 s1, s1
	s_cbranch_execz .LBB3_17
; %bb.12:
	v_mad_u64_u32 v[1:2], null, v0, s18, v[0:1]
	v_mov_b32_e32 v4, 1.0
	s_cmpk_eq_i32 s17, 0x84
	v_lshlrev_b32_e32 v2, 2, v1
	s_cbranch_scc1 .LBB3_16
; %bb.13:
	ds_read_b32 v3, v2
	v_mov_b32_e32 v4, 1.0
	s_mov_b32 s2, exec_lo
	s_waitcnt lgkmcnt(0)
	v_cmpx_neq_f32_e32 0, v3
	s_cbranch_execz .LBB3_15
; %bb.14:
	v_div_scale_f32 v4, null, v3, v3, 1.0
	v_rcp_f32_e32 v5, v4
	v_fma_f32 v6, -v4, v5, 1.0
	v_fmac_f32_e32 v5, v6, v5
	v_div_scale_f32 v6, vcc_lo, 1.0, v3, 1.0
	v_mul_f32_e32 v7, v6, v5
	v_fma_f32 v8, -v4, v7, v6
	v_fmac_f32_e32 v7, v8, v5
	v_fma_f32 v4, -v4, v7, v6
	v_div_fmas_f32 v4, v4, v5, v7
	v_div_fixup_f32 v4, v4, v3, 1.0
.LBB3_15:
	s_or_b32 exec_lo, exec_lo, s2
.LBB3_16:
	ds_write_b32 v2, v4
.LBB3_17:
	s_or_b32 exec_lo, exec_lo, s1
	v_lshlrev_b32_e32 v3, 2, v0
	s_lshl_b32 s1, s18, 2
	v_lshlrev_b32_e32 v1, 2, v1
	s_mov_b32 s2, 4
	s_add_i32 s3, s1, 4
	v_add_nc_u32_e32 v2, s1, v3
	s_mov_b32 s8, 0
	s_waitcnt lgkmcnt(0)
	s_barrier
	buffer_gl0_inv
	s_branch .LBB3_19
.LBB3_18:                               ;   in Loop: Header=BB3_19 Depth=1
	s_inst_prefetch 0x2
	v_add_nc_u32_e32 v2, s1, v2
	s_add_i32 s2, s2, s3
	s_cmp_eq_u32 s8, s18
	s_barrier
	buffer_gl0_inv
	s_cbranch_scc1 .LBB3_28
.LBB3_19:                               ; =>This Loop Header: Depth=1
                                        ;     Child Loop BB3_24 Depth 2
	v_mov_b32_e32 v4, 0
	s_mul_i32 s9, s8, s18
	s_mov_b32 s10, exec_lo
	v_cmpx_lt_u32_e64 s8, v0
	s_cbranch_execz .LBB3_21
; %bb.20:                               ;   in Loop: Header=BB3_19 Depth=1
	s_lshl_b32 s11, s8, 2
	s_lshl_b32 s17, s9, 2
	s_add_i32 s11, s11, s17
	v_add_nc_u32_e32 v4, s17, v3
	v_mov_b32_e32 v5, s11
	ds_read_b32 v4, v4
	ds_read_b32 v5, v5
	s_waitcnt lgkmcnt(0)
	v_fma_f32 v4, v4, v5, 0
.LBB3_21:                               ;   in Loop: Header=BB3_19 Depth=1
	s_or_b32 exec_lo, exec_lo, s10
	s_add_i32 s8, s8, 1
	s_cmp_ge_i32 s8, s18
	s_barrier
	buffer_gl0_inv
	s_cbranch_scc1 .LBB3_18
; %bb.22:                               ;   in Loop: Header=BB3_19 Depth=1
	v_lshl_add_u32 v5, s9, 2, v3
	v_mov_b32_e32 v6, v2
	s_mov_b32 s9, s2
	s_mov_b32 s10, s8
	s_inst_prefetch 0x1
	s_branch .LBB3_24
	.p2align	6
.LBB3_23:                               ;   in Loop: Header=BB3_24 Depth=2
	s_or_b32 exec_lo, exec_lo, s11
	v_add_nc_u32_e32 v6, s1, v6
	s_add_i32 s10, s10, 1
	s_add_i32 s9, s9, 4
	s_cmp_eq_u32 s18, s10
	s_barrier
	buffer_gl0_inv
	s_cbranch_scc1 .LBB3_18
.LBB3_24:                               ;   Parent Loop BB3_19 Depth=1
                                        ; =>  This Inner Loop Header: Depth=2
	s_mov_b32 s11, exec_lo
	v_cmpx_eq_u32_e64 s10, v0
	s_cbranch_execz .LBB3_26
; %bb.25:                               ;   in Loop: Header=BB3_24 Depth=2
	ds_read_b32 v7, v1
	s_waitcnt lgkmcnt(0)
	v_mul_f32_e64 v7, -v4, v7
	ds_write_b32 v5, v7
.LBB3_26:                               ;   in Loop: Header=BB3_24 Depth=2
	s_or_b32 exec_lo, exec_lo, s11
	s_mov_b32 s11, exec_lo
	s_waitcnt lgkmcnt(0)
	s_barrier
	buffer_gl0_inv
	v_cmpx_lt_u32_e64 s10, v0
	s_cbranch_execz .LBB3_23
; %bb.27:                               ;   in Loop: Header=BB3_24 Depth=2
	v_mov_b32_e32 v7, s9
	ds_read_b32 v8, v6
	ds_read_b32 v7, v7
	s_waitcnt lgkmcnt(0)
	v_fmac_f32_e32 v4, v8, v7
	s_branch .LBB3_23
.LBB3_28:
	s_and_saveexec_b32 s2, s0
	s_cbranch_execz .LBB3_36
; %bb.29:
	s_clause 0x1
	s_load_dwordx4 s[8:11], s[4:5], 0x50
	s_load_dword s2, s[4:5], 0x48
	s_waitcnt lgkmcnt(0)
	s_mul_i32 s0, s9, s7
	s_mul_hi_u32 s3, s8, s7
	s_mul_i32 s4, s8, s7
	s_mul_i32 s7, s11, s6
	s_mul_hi_u32 s8, s10, s6
	s_add_i32 s5, s3, s0
	s_add_i32 s7, s8, s7
	s_mul_i32 s6, s10, s6
	s_cmpk_lg_i32 s16, 0x7a
	s_mov_b32 s0, -1
	s_cbranch_scc0 .LBB3_33
; %bb.30:
	s_add_i32 s0, s18, -1
	s_lshl_b64 s[8:9], s[6:7], 2
	s_lshl_b64 s[10:11], s[4:5], 2
	s_ashr_i32 s3, s2, 31
	s_add_u32 s10, s8, s10
	s_mul_i32 s8, s3, s0
	s_mul_hi_u32 s16, s2, s0
	s_addc_u32 s11, s9, s11
	s_add_i32 s9, s16, s8
	s_mul_i32 s8, s2, s0
	v_sub_nc_u32_e32 v1, s0, v0
	s_lshl_b64 s[8:9], s[8:9], 2
	s_add_u32 s0, s10, s8
	s_addc_u32 s10, s11, s9
	s_lshl_b64 s[8:9], s[14:15], 2
	v_lshlrev_b32_e32 v4, 2, v1
	v_lshlrev_b32_e32 v1, 2, v0
	s_add_u32 s0, s0, s8
	s_addc_u32 s8, s10, s9
	s_add_u32 s0, s12, s0
	s_addc_u32 s10, s13, s8
	v_add_co_u32 v1, s0, s0, v1
	s_lshl_b64 s[8:9], s[2:3], 2
	v_add_co_ci_u32_e64 v2, null, s10, 0, s0
	s_sub_u32 s3, 0, s8
	s_subb_u32 s9, 0, s9
	s_mov_b32 s8, 0
.LBB3_31:                               ; =>This Inner Loop Header: Depth=1
	ds_read_b32 v5, v4
	s_add_i32 s18, s18, -1
	v_add_nc_u32_e32 v4, s1, v4
	v_cmp_le_u32_e32 vcc_lo, s18, v0
	s_or_b32 s8, vcc_lo, s8
	s_waitcnt lgkmcnt(0)
	global_store_dword v[1:2], v5, off
	v_add_co_u32 v1, s0, v1, s3
	v_add_co_ci_u32_e64 v2, null, s9, v2, s0
	s_andn2_b32 exec_lo, exec_lo, s8
	s_cbranch_execnz .LBB3_31
; %bb.32:
	s_or_b32 exec_lo, exec_lo, s8
	s_mov_b32 s0, 0
.LBB3_33:
	s_and_b32 vcc_lo, exec_lo, s0
	s_cbranch_vccz .LBB3_36
; %bb.34:
	s_lshl_b64 s[4:5], s[4:5], 2
	v_lshlrev_b32_e32 v1, 2, v0
	s_add_u32 s0, s12, s4
	s_addc_u32 s3, s13, s5
	s_lshl_b64 s[4:5], s[14:15], 2
	v_add_nc_u32_e32 v0, 1, v0
	s_add_u32 s0, s0, s4
	s_addc_u32 s3, s3, s5
	s_lshl_b64 s[4:5], s[6:7], 2
	s_add_u32 s0, s0, s4
	s_addc_u32 s4, s3, s5
	v_add_co_u32 v1, s0, s0, v1
	v_add_co_ci_u32_e64 v2, null, s4, 0, s0
	s_ashr_i32 s3, s2, 31
	s_mov_b32 s4, 0
	s_lshl_b64 s[2:3], s[2:3], 2
.LBB3_35:                               ; =>This Inner Loop Header: Depth=1
	ds_read_b32 v4, v3
	v_add_nc_u32_e32 v0, -1, v0
	v_add_nc_u32_e32 v3, s1, v3
	v_cmp_eq_u32_e32 vcc_lo, 0, v0
	s_or_b32 s4, vcc_lo, s4
	s_waitcnt lgkmcnt(0)
	global_store_dword v[1:2], v4, off
	v_add_co_u32 v1, s0, v1, s2
	v_add_co_ci_u32_e64 v2, null, s3, v2, s0
	s_andn2_b32 exec_lo, exec_lo, s4
	s_cbranch_execnz .LBB3_35
.LBB3_36:
	s_endpgm
	.section	.rodata,"a",@progbits
	.p2align	6, 0x0
	.amdhsa_kernel _ZL30rocblas_trtri_remainder_kernelILi16EfPKfPfEv13rocblas_fill_17rocblas_diagonal_iT1_lillT2_lilli
		.amdhsa_group_segment_fixed_size 4096
		.amdhsa_private_segment_fixed_size 0
		.amdhsa_kernarg_size 100
		.amdhsa_user_sgpr_count 6
		.amdhsa_user_sgpr_private_segment_buffer 1
		.amdhsa_user_sgpr_dispatch_ptr 0
		.amdhsa_user_sgpr_queue_ptr 0
		.amdhsa_user_sgpr_kernarg_segment_ptr 1
		.amdhsa_user_sgpr_dispatch_id 0
		.amdhsa_user_sgpr_flat_scratch_init 0
		.amdhsa_user_sgpr_private_segment_size 0
		.amdhsa_wavefront_size32 1
		.amdhsa_uses_dynamic_stack 0
		.amdhsa_system_sgpr_private_segment_wavefront_offset 0
		.amdhsa_system_sgpr_workgroup_id_x 1
		.amdhsa_system_sgpr_workgroup_id_y 0
		.amdhsa_system_sgpr_workgroup_id_z 1
		.amdhsa_system_sgpr_workgroup_info 0
		.amdhsa_system_vgpr_workitem_id 0
		.amdhsa_next_free_vgpr 9
		.amdhsa_next_free_sgpr 31
		.amdhsa_reserve_vcc 1
		.amdhsa_reserve_flat_scratch 0
		.amdhsa_float_round_mode_32 0
		.amdhsa_float_round_mode_16_64 0
		.amdhsa_float_denorm_mode_32 3
		.amdhsa_float_denorm_mode_16_64 3
		.amdhsa_dx10_clamp 1
		.amdhsa_ieee_mode 1
		.amdhsa_fp16_overflow 0
		.amdhsa_workgroup_processor_mode 1
		.amdhsa_memory_ordered 1
		.amdhsa_forward_progress 1
		.amdhsa_shared_vgpr_count 0
		.amdhsa_exception_fp_ieee_invalid_op 0
		.amdhsa_exception_fp_denorm_src 0
		.amdhsa_exception_fp_ieee_div_zero 0
		.amdhsa_exception_fp_ieee_overflow 0
		.amdhsa_exception_fp_ieee_underflow 0
		.amdhsa_exception_fp_ieee_inexact 0
		.amdhsa_exception_int_div_zero 0
	.end_amdhsa_kernel
	.section	.text._ZL30rocblas_trtri_remainder_kernelILi16EfPKfPfEv13rocblas_fill_17rocblas_diagonal_iT1_lillT2_lilli,"axG",@progbits,_ZL30rocblas_trtri_remainder_kernelILi16EfPKfPfEv13rocblas_fill_17rocblas_diagonal_iT1_lillT2_lilli,comdat
.Lfunc_end3:
	.size	_ZL30rocblas_trtri_remainder_kernelILi16EfPKfPfEv13rocblas_fill_17rocblas_diagonal_iT1_lillT2_lilli, .Lfunc_end3-_ZL30rocblas_trtri_remainder_kernelILi16EfPKfPfEv13rocblas_fill_17rocblas_diagonal_iT1_lillT2_lilli
                                        ; -- End function
	.set _ZL30rocblas_trtri_remainder_kernelILi16EfPKfPfEv13rocblas_fill_17rocblas_diagonal_iT1_lillT2_lilli.num_vgpr, 9
	.set _ZL30rocblas_trtri_remainder_kernelILi16EfPKfPfEv13rocblas_fill_17rocblas_diagonal_iT1_lillT2_lilli.num_agpr, 0
	.set _ZL30rocblas_trtri_remainder_kernelILi16EfPKfPfEv13rocblas_fill_17rocblas_diagonal_iT1_lillT2_lilli.numbered_sgpr, 31
	.set _ZL30rocblas_trtri_remainder_kernelILi16EfPKfPfEv13rocblas_fill_17rocblas_diagonal_iT1_lillT2_lilli.num_named_barrier, 0
	.set _ZL30rocblas_trtri_remainder_kernelILi16EfPKfPfEv13rocblas_fill_17rocblas_diagonal_iT1_lillT2_lilli.private_seg_size, 0
	.set _ZL30rocblas_trtri_remainder_kernelILi16EfPKfPfEv13rocblas_fill_17rocblas_diagonal_iT1_lillT2_lilli.uses_vcc, 1
	.set _ZL30rocblas_trtri_remainder_kernelILi16EfPKfPfEv13rocblas_fill_17rocblas_diagonal_iT1_lillT2_lilli.uses_flat_scratch, 0
	.set _ZL30rocblas_trtri_remainder_kernelILi16EfPKfPfEv13rocblas_fill_17rocblas_diagonal_iT1_lillT2_lilli.has_dyn_sized_stack, 0
	.set _ZL30rocblas_trtri_remainder_kernelILi16EfPKfPfEv13rocblas_fill_17rocblas_diagonal_iT1_lillT2_lilli.has_recursion, 0
	.set _ZL30rocblas_trtri_remainder_kernelILi16EfPKfPfEv13rocblas_fill_17rocblas_diagonal_iT1_lillT2_lilli.has_indirect_call, 0
	.section	.AMDGPU.csdata,"",@progbits
; Kernel info:
; codeLenInByte = 1448
; TotalNumSgprs: 33
; NumVgprs: 9
; ScratchSize: 0
; MemoryBound: 0
; FloatMode: 240
; IeeeMode: 1
; LDSByteSize: 4096 bytes/workgroup (compile time only)
; SGPRBlocks: 0
; VGPRBlocks: 1
; NumSGPRsForWavesPerEU: 33
; NumVGPRsForWavesPerEU: 9
; Occupancy: 16
; WaveLimiterHint : 0
; COMPUTE_PGM_RSRC2:SCRATCH_EN: 0
; COMPUTE_PGM_RSRC2:USER_SGPR: 6
; COMPUTE_PGM_RSRC2:TRAP_HANDLER: 0
; COMPUTE_PGM_RSRC2:TGID_X_EN: 1
; COMPUTE_PGM_RSRC2:TGID_Y_EN: 0
; COMPUTE_PGM_RSRC2:TGID_Z_EN: 1
; COMPUTE_PGM_RSRC2:TIDIG_COMP_CNT: 0
	.section	.text._ZL18rocblas_trtri_fillILi128EdPdEvP15_rocblas_handle13rocblas_fill_ililT1_llii,"axG",@progbits,_ZL18rocblas_trtri_fillILi128EdPdEvP15_rocblas_handle13rocblas_fill_ililT1_llii,comdat
	.globl	_ZL18rocblas_trtri_fillILi128EdPdEvP15_rocblas_handle13rocblas_fill_ililT1_llii ; -- Begin function _ZL18rocblas_trtri_fillILi128EdPdEvP15_rocblas_handle13rocblas_fill_ililT1_llii
	.p2align	8
	.type	_ZL18rocblas_trtri_fillILi128EdPdEvP15_rocblas_handle13rocblas_fill_ililT1_llii,@function
_ZL18rocblas_trtri_fillILi128EdPdEvP15_rocblas_handle13rocblas_fill_ililT1_llii: ; @_ZL18rocblas_trtri_fillILi128EdPdEvP15_rocblas_handle13rocblas_fill_ililT1_llii
; %bb.0:
	s_clause 0x1
	s_load_dword s1, s[4:5], 0x40
	s_load_dwordx2 s[2:3], s[4:5], 0x10
	s_mov_b32 s0, s7
	s_mov_b32 s7, 0
	s_lshl_b64 s[8:9], s[6:7], 7
	v_or_b32_e32 v0, s8, v0
	v_mov_b32_e32 v1, s9
	s_waitcnt lgkmcnt(0)
	s_ashr_i32 s6, s1, 31
	s_mul_hi_u32 s8, s2, s1
	s_mul_i32 s6, s2, s6
	s_mul_i32 s9, s3, s1
	s_add_i32 s6, s8, s6
	s_mul_i32 s16, s2, s1
	s_add_i32 s17, s6, s9
	s_mov_b32 s1, exec_lo
	v_cmpx_gt_u64_e64 s[16:17], v[0:1]
	s_cbranch_execz .LBB4_14
; %bb.1:
	s_clause 0x2
	s_load_dwordx8 s[8:15], s[4:5], 0x20
	s_load_dword s18, s[4:5], 0x18
	s_load_dwordx2 s[20:21], s[4:5], 0x8
	v_cvt_f32_u32_e32 v2, s2
	v_cvt_f32_u32_e32 v3, s2
	;; [unrolled: 1-line block ×3, first 2 shown]
	s_clause 0x1
	s_load_dword s22, s[4:5], 0x48
	s_load_dword s23, s[4:5], 0x54
	v_rcp_iflag_f32_e32 v2, v2
	v_fmamk_f32 v3, v4, 0x4f800000, v3
	v_rcp_f32_e32 v3, v3
	v_mul_f32_e32 v2, 0x4f7ffffe, v2
	s_waitcnt lgkmcnt(0)
	s_mul_i32 s1, s15, s0
	s_mul_hi_u32 s4, s14, s0
	s_mul_i32 s0, s14, s0
	s_add_i32 s1, s4, s1
	s_ashr_i32 s19, s18, 31
	s_lshl_b64 s[0:1], s[0:1], 3
	v_cvt_u32_f32_e32 v5, v2
	s_add_u32 s0, s10, s0
	s_addc_u32 s6, s11, s1
	s_lshl_b64 s[4:5], s[12:13], 3
	v_mul_f32_e32 v4, 0x5f7ffffc, v3
	s_add_u32 s1, s0, s4
	s_addc_u32 s6, s6, s5
	s_add_i32 s0, s21, -1
	s_add_i32 s11, s21, -2
	s_mul_hi_i32 s5, s0, s21
	s_mul_i32 s4, s0, s21
	s_ashr_i32 s10, s21, 31
	s_lshl_b64 s[12:13], s[4:5], 2
	v_cvt_f64_i32_e32 v[2:3], s11
	s_add_u32 s11, s12, -7
	s_addc_u32 s12, s13, -1
	s_sub_i32 s0, 0, s2
	v_mul_f32_e32 v6, 0x2f800000, v4
	v_mul_lo_u32 v7, s0, v5
	s_and_b32 s0, s23, 0xffff
	s_mov_b32 s13, s21
	s_lshr_b64 s[4:5], s[4:5], 1
	v_trunc_f32_e32 v6, v6
	s_mul_hi_u32 s14, s0, s22
	s_mul_i32 s15, s0, s22
	v_mul_hi_u32 v7, v5, v7
	v_fmamk_f32 v8, v6, 0xcf800000, v4
	v_mov_b32_e32 v4, 0
	v_cvt_u32_f32_e32 v11, v6
	v_cvt_u32_f32_e32 v10, v8
	v_add_nc_u32_e32 v12, v5, v7
	s_branch .LBB4_3
.LBB4_2:                                ;   in Loop: Header=BB4_3 Depth=1
	v_add_co_u32 v0, vcc_lo, v0, s15
	v_add_co_ci_u32_e64 v1, null, s14, v1, vcc_lo
	v_cmp_le_u64_e32 vcc_lo, s[16:17], v[0:1]
	s_or_b32 s7, vcc_lo, s7
	s_andn2_b32 exec_lo, exec_lo, s7
	s_cbranch_execz .LBB4_14
.LBB4_3:                                ; =>This Inner Loop Header: Depth=1
	v_or_b32_e32 v5, s3, v1
                                        ; implicit-def: $vgpr6_vgpr7
	s_mov_b32 s0, exec_lo
	v_cmpx_ne_u64_e32 0, v[4:5]
	s_xor_b32 s21, exec_lo, s0
	s_cbranch_execz .LBB4_5
; %bb.4:                                ;   in Loop: Header=BB4_3 Depth=1
	v_readfirstlane_b32 s0, v10
	v_readfirstlane_b32 s22, v11
	s_sub_u32 s23, 0, s2
	s_subb_u32 s24, 0, s3
	s_mul_hi_u32 s25, s23, s0
	s_mul_i32 s26, s23, s22
	s_mul_i32 s27, s24, s0
	s_add_i32 s25, s25, s26
	s_mul_i32 s26, s23, s0
	s_add_i32 s25, s25, s27
	s_mul_hi_u32 s27, s0, s26
	s_mul_i32 s28, s0, s25
	s_mul_hi_u32 s29, s0, s25
	s_add_u32 s27, s27, s28
	s_mul_i32 s30, s22, s26
	s_addc_u32 s28, 0, s29
	s_mul_hi_u32 s26, s22, s26
	s_mul_hi_u32 s29, s22, s25
	s_add_u32 s27, s27, s30
	s_addc_u32 s26, s28, s26
	s_mul_i32 s25, s22, s25
	s_addc_u32 s27, s29, 0
	s_add_u32 s25, s26, s25
	s_addc_u32 s26, 0, s27
	s_add_u32 s0, s0, s25
	s_cselect_b32 s25, -1, 0
	s_mul_i32 s24, s24, s0
	s_cmp_lg_u32 s25, 0
	s_addc_u32 s22, s22, s26
	s_mul_hi_u32 s26, s23, s0
	s_mul_i32 s25, s23, s22
	s_mul_i32 s23, s23, s0
	s_add_i32 s25, s26, s25
	s_mul_hi_u32 s26, s22, s23
	s_add_i32 s25, s25, s24
	s_mul_i32 s27, s22, s23
	s_mul_i32 s28, s0, s25
	s_mul_hi_u32 s23, s0, s23
	s_mul_hi_u32 s29, s0, s25
	s_add_u32 s23, s23, s28
	s_addc_u32 s28, 0, s29
	s_mul_hi_u32 s24, s22, s25
	s_add_u32 s23, s23, s27
	s_addc_u32 s23, s28, s26
	s_mul_i32 s25, s22, s25
	s_addc_u32 s24, s24, 0
	s_add_u32 s23, s23, s25
	s_addc_u32 s24, 0, s24
	s_add_u32 s0, s0, s23
	s_cselect_b32 s23, -1, 0
	v_mul_hi_u32 v9, v0, s0
	s_cmp_lg_u32 s23, 0
	v_mad_u64_u32 v[7:8], null, v1, s0, 0
	s_addc_u32 s22, s22, s24
	v_mad_u64_u32 v[5:6], null, v0, s22, 0
	v_add_co_u32 v9, vcc_lo, v9, v5
	v_add_co_ci_u32_e64 v13, null, 0, v6, vcc_lo
	v_mad_u64_u32 v[5:6], null, v1, s22, 0
	v_add_co_u32 v7, vcc_lo, v9, v7
	v_add_co_ci_u32_e32 v7, vcc_lo, v13, v8, vcc_lo
	v_add_co_ci_u32_e32 v6, vcc_lo, 0, v6, vcc_lo
	v_add_co_u32 v8, vcc_lo, v7, v5
	v_add_co_ci_u32_e64 v7, null, 0, v6, vcc_lo
	v_mul_lo_u32 v9, s3, v8
	v_mad_u64_u32 v[5:6], null, s2, v8, 0
	v_mul_lo_u32 v13, s2, v7
	v_sub_co_u32 v5, vcc_lo, v0, v5
	v_add3_u32 v6, v6, v13, v9
	v_add_co_u32 v13, s0, v8, 2
	v_add_co_ci_u32_e64 v14, null, 0, v7, s0
	v_sub_nc_u32_e32 v9, v1, v6
	v_sub_co_u32 v15, s0, v5, s2
	v_sub_co_ci_u32_e64 v6, null, v1, v6, vcc_lo
	v_subrev_co_ci_u32_e64 v9, null, s3, v9, vcc_lo
	v_cmp_le_u32_e32 vcc_lo, s2, v15
	v_subrev_co_ci_u32_e64 v9, null, 0, v9, s0
	v_cndmask_b32_e64 v15, 0, -1, vcc_lo
	v_cmp_eq_u32_e64 s0, s3, v6
	v_cmp_le_u32_e32 vcc_lo, s3, v9
	v_cndmask_b32_e64 v16, 0, -1, vcc_lo
	v_cmp_le_u32_e32 vcc_lo, s2, v5
	v_cndmask_b32_e64 v5, 0, -1, vcc_lo
	;; [unrolled: 2-line block ×3, first 2 shown]
	v_cmp_eq_u32_e32 vcc_lo, s3, v9
	v_cndmask_b32_e64 v5, v17, v5, s0
	v_cndmask_b32_e32 v9, v16, v15, vcc_lo
	v_add_co_u32 v15, vcc_lo, v8, 1
	v_add_co_ci_u32_e64 v16, null, 0, v7, vcc_lo
	v_cmp_ne_u32_e32 vcc_lo, 0, v9
	v_cndmask_b32_e32 v6, v16, v14, vcc_lo
	v_cndmask_b32_e32 v9, v15, v13, vcc_lo
	v_cmp_ne_u32_e32 vcc_lo, 0, v5
	v_cndmask_b32_e32 v7, v7, v6, vcc_lo
	v_cndmask_b32_e32 v6, v8, v9, vcc_lo
.LBB4_5:                                ;   in Loop: Header=BB4_3 Depth=1
	s_andn2_saveexec_b32 s0, s21
	s_cbranch_execz .LBB4_7
; %bb.6:                                ;   in Loop: Header=BB4_3 Depth=1
	v_mul_hi_u32 v5, v0, v12
	v_mul_lo_u32 v6, v5, s2
	v_add_nc_u32_e32 v7, 1, v5
	v_sub_nc_u32_e32 v6, v0, v6
	v_subrev_nc_u32_e32 v8, s2, v6
	v_cmp_le_u32_e32 vcc_lo, s2, v6
	v_cndmask_b32_e32 v6, v6, v8, vcc_lo
	v_cndmask_b32_e32 v5, v5, v7, vcc_lo
	v_cmp_le_u32_e32 vcc_lo, s2, v6
	v_add_nc_u32_e32 v7, 1, v5
	v_cndmask_b32_e32 v6, v5, v7, vcc_lo
	v_mov_b32_e32 v7, v4
.LBB4_7:                                ;   in Loop: Header=BB4_3 Depth=1
	s_or_b32 exec_lo, exec_lo, s0
	v_mul_lo_u32 v5, v7, s2
	v_mul_lo_u32 v13, v6, s3
	v_mad_u64_u32 v[8:9], null, v6, s2, 0
	s_cmpk_lt_i32 s20, 0x7a
	s_mov_b32 s0, -1
	v_add3_u32 v5, v9, v13, v5
	v_sub_co_u32 v8, vcc_lo, v0, v8
	v_sub_co_ci_u32_e64 v9, null, v1, v5, vcc_lo
	s_cbranch_scc1 .LBB4_11
; %bb.8:                                ;   in Loop: Header=BB4_3 Depth=1
	s_cmpk_eq_i32 s20, 0x7a
	s_cbranch_scc0 .LBB4_10
; %bb.9:                                ;   in Loop: Header=BB4_3 Depth=1
	v_lshlrev_b64 v[13:14], 3, v[8:9]
	v_sub_co_u32 v5, vcc_lo, s11, v13
	v_sub_co_ci_u32_e64 v13, null, s12, v14, vcc_lo
	v_cvt_f64_u32_e32 v[15:16], v5
	v_cvt_f64_u32_e32 v[13:14], v13
	v_ldexp_f64 v[13:14], v[13:14], 32
	v_add_f64 v[13:14], v[13:14], v[15:16]
	v_cmp_gt_f64_e32 vcc_lo, 0x10000000, v[13:14]
	v_cndmask_b32_e64 v5, 0, 0x100, vcc_lo
	v_ldexp_f64 v[13:14], v[13:14], v5
	v_cndmask_b32_e64 v5, 0, 0xffffff80, vcc_lo
	v_rsq_f64_e32 v[15:16], v[13:14]
	v_cmp_class_f64_e64 vcc_lo, v[13:14], 0x260
	v_mul_f64 v[17:18], v[13:14], v[15:16]
	v_mul_f64 v[15:16], v[15:16], 0.5
	v_fma_f64 v[19:20], -v[15:16], v[17:18], 0.5
	v_fma_f64 v[17:18], v[17:18], v[19:20], v[17:18]
	v_fma_f64 v[15:16], v[15:16], v[19:20], v[15:16]
	v_fma_f64 v[19:20], -v[17:18], v[17:18], v[13:14]
	v_fma_f64 v[17:18], v[19:20], v[15:16], v[17:18]
	v_fma_f64 v[19:20], -v[17:18], v[17:18], v[13:14]
	v_fma_f64 v[15:16], v[19:20], v[15:16], v[17:18]
	v_ldexp_f64 v[15:16], v[15:16], v5
	v_mul_lo_u32 v5, v7, s8
	v_cndmask_b32_e32 v14, v16, v14, vcc_lo
	v_cndmask_b32_e32 v13, v15, v13, vcc_lo
	v_fma_f64 v[13:14], v[13:14], 0.5, -0.5
	v_floor_f64_e32 v[13:14], v[13:14]
	v_add_f64 v[13:14], v[2:3], -v[13:14]
	v_trunc_f64_e32 v[13:14], v[13:14]
	v_ldexp_f64 v[15:16], v[13:14], 0xffffffe0
	v_floor_f64_e32 v[15:16], v[15:16]
	v_fma_f64 v[13:14], 0xc1f00000, v[15:16], v[13:14]
	v_cvt_u32_f64_e32 v15, v[15:16]
	v_mad_u64_u32 v[16:17], null, v6, s8, 0
	v_cvt_u32_f64_e32 v14, v[13:14]
	v_mul_lo_u32 v13, v6, s9
	v_add3_u32 v17, v17, v13, v5
	v_mul_lo_u32 v5, v15, s18
	v_lshlrev_b64 v[16:17], 3, v[16:17]
	v_sub_co_u32 v13, vcc_lo, s13, v14
	v_sub_co_ci_u32_e64 v22, null, s10, v15, vcc_lo
	v_mul_lo_u32 v23, v14, s19
	v_mad_u64_u32 v[18:19], null, v14, s18, 0
	v_add_co_u32 v24, vcc_lo, v13, -1
	v_add_co_ci_u32_e64 v25, null, -1, v22, vcc_lo
	v_sub_co_u32 v20, vcc_lo, v8, s4
	v_add3_u32 v19, v19, v23, v5
	v_mul_lo_u32 v5, v25, v13
	v_mul_lo_u32 v25, v24, v22
	v_mad_u64_u32 v[22:23], null, v24, v13, 0
	v_subrev_co_ci_u32_e64 v21, null, s5, v9, vcc_lo
	v_lshlrev_b64 v[18:19], 3, v[18:19]
	v_add_co_u32 v13, vcc_lo, s1, v16
	v_add_co_ci_u32_e64 v16, null, s6, v17, vcc_lo
	v_lshlrev_b64 v[20:21], 3, v[20:21]
	v_add3_u32 v23, v23, v25, v5
	v_add_co_u32 v5, vcc_lo, v13, v18
	v_add_co_ci_u32_e64 v18, null, v16, v19, vcc_lo
	v_lshlrev_b64 v[16:17], 2, v[22:23]
	v_lshlrev_b64 v[13:14], 3, v[14:15]
	v_add_co_u32 v5, vcc_lo, v5, v20
	v_add_co_ci_u32_e64 v15, null, v18, v21, vcc_lo
	v_and_b32_e32 v16, -8, v16
	v_add_co_u32 v5, vcc_lo, v5, v13
	v_add_co_ci_u32_e64 v14, null, v15, v14, vcc_lo
	v_add_co_u32 v13, vcc_lo, v5, v16
	v_add_co_ci_u32_e64 v14, null, v14, v17, vcc_lo
	v_mov_b32_e32 v5, v4
	global_store_dwordx2 v[13:14], v[4:5], off offset:8
.LBB4_10:                               ;   in Loop: Header=BB4_3 Depth=1
	s_mov_b32 s0, 0
.LBB4_11:                               ;   in Loop: Header=BB4_3 Depth=1
	s_andn2_b32 vcc_lo, exec_lo, s0
	s_cbranch_vccnz .LBB4_2
; %bb.12:                               ;   in Loop: Header=BB4_3 Depth=1
	s_cmpk_lg_i32 s20, 0x79
	s_cbranch_scc1 .LBB4_2
; %bb.13:                               ;   in Loop: Header=BB4_3 Depth=1
	v_lshlrev_b64 v[13:14], 3, v[8:9]
	v_mul_lo_u32 v7, v7, s8
	v_cvt_f64_u32_e32 v[14:15], v14
	v_or_b32_e32 v5, 1, v13
	v_cvt_f64_u32_e32 v[16:17], v5
	v_ldexp_f64 v[13:14], v[14:15], 32
	v_add_f64 v[13:14], v[13:14], v[16:17]
	v_cmp_gt_f64_e32 vcc_lo, 0x10000000, v[13:14]
	v_cndmask_b32_e64 v5, 0, 0x100, vcc_lo
	v_ldexp_f64 v[13:14], v[13:14], v5
	v_cndmask_b32_e64 v5, 0, 0xffffff80, vcc_lo
	v_rsq_f64_e32 v[15:16], v[13:14]
	v_cmp_class_f64_e64 vcc_lo, v[13:14], 0x260
	v_mul_f64 v[17:18], v[13:14], v[15:16]
	v_mul_f64 v[15:16], v[15:16], 0.5
	v_fma_f64 v[19:20], -v[15:16], v[17:18], 0.5
	v_fma_f64 v[17:18], v[17:18], v[19:20], v[17:18]
	v_fma_f64 v[15:16], v[15:16], v[19:20], v[15:16]
	v_fma_f64 v[19:20], -v[17:18], v[17:18], v[13:14]
	v_fma_f64 v[17:18], v[19:20], v[15:16], v[17:18]
	v_fma_f64 v[19:20], -v[17:18], v[17:18], v[13:14]
	v_fma_f64 v[15:16], v[19:20], v[15:16], v[17:18]
	v_mul_lo_u32 v18, v6, s9
	v_ldexp_f64 v[15:16], v[15:16], v5
	v_mad_u64_u32 v[5:6], null, v6, s8, 0
	v_add3_u32 v6, v6, v18, v7
	v_lshlrev_b64 v[5:6], 3, v[5:6]
	v_cndmask_b32_e32 v14, v16, v14, vcc_lo
	v_cndmask_b32_e32 v13, v15, v13, vcc_lo
	v_add_f64 v[13:14], v[13:14], -1.0
	v_mul_f64 v[13:14], v[13:14], 0.5
	v_trunc_f64_e32 v[13:14], v[13:14]
	v_ldexp_f64 v[15:16], v[13:14], 0xffffffe0
	v_floor_f64_e32 v[15:16], v[15:16]
	v_fma_f64 v[13:14], 0xc1f00000, v[15:16], v[13:14]
	v_cvt_u32_f64_e32 v15, v[15:16]
	v_cvt_u32_f64_e32 v14, v[13:14]
	v_mad_u64_u32 v[16:17], null, v14, v14, v[14:15]
	v_mul_lo_u32 v19, v14, v15
	v_mul_lo_u32 v15, s18, v15
	;; [unrolled: 1-line block ×3, first 2 shown]
	v_mad_u64_u32 v[13:14], null, s18, v14, s[18:19]
	v_add3_u32 v17, v19, v17, v19
	v_add3_u32 v14, v20, v14, v15
	v_lshrrev_b64 v[15:16], 1, v[16:17]
	v_lshlrev_b64 v[13:14], 3, v[13:14]
	v_sub_co_u32 v7, vcc_lo, v8, v15
	v_sub_co_ci_u32_e64 v8, null, v9, v16, vcc_lo
	v_add_co_u32 v9, vcc_lo, s1, v5
	v_add_co_ci_u32_e64 v15, null, s6, v6, vcc_lo
	v_lshlrev_b64 v[5:6], 3, v[7:8]
	v_add_co_u32 v7, vcc_lo, v9, v13
	v_add_co_ci_u32_e64 v8, null, v15, v14, vcc_lo
	v_add_co_u32 v7, vcc_lo, v7, v5
	v_add_co_ci_u32_e64 v8, null, v8, v6, vcc_lo
	v_mov_b32_e32 v5, v4
	global_store_dwordx2 v[7:8], v[4:5], off
	s_branch .LBB4_2
.LBB4_14:
	s_endpgm
	.section	.rodata,"a",@progbits
	.p2align	6, 0x0
	.amdhsa_kernel _ZL18rocblas_trtri_fillILi128EdPdEvP15_rocblas_handle13rocblas_fill_ililT1_llii
		.amdhsa_group_segment_fixed_size 0
		.amdhsa_private_segment_fixed_size 0
		.amdhsa_kernarg_size 328
		.amdhsa_user_sgpr_count 6
		.amdhsa_user_sgpr_private_segment_buffer 1
		.amdhsa_user_sgpr_dispatch_ptr 0
		.amdhsa_user_sgpr_queue_ptr 0
		.amdhsa_user_sgpr_kernarg_segment_ptr 1
		.amdhsa_user_sgpr_dispatch_id 0
		.amdhsa_user_sgpr_flat_scratch_init 0
		.amdhsa_user_sgpr_private_segment_size 0
		.amdhsa_wavefront_size32 1
		.amdhsa_uses_dynamic_stack 0
		.amdhsa_system_sgpr_private_segment_wavefront_offset 0
		.amdhsa_system_sgpr_workgroup_id_x 1
		.amdhsa_system_sgpr_workgroup_id_y 0
		.amdhsa_system_sgpr_workgroup_id_z 1
		.amdhsa_system_sgpr_workgroup_info 0
		.amdhsa_system_vgpr_workitem_id 0
		.amdhsa_next_free_vgpr 26
		.amdhsa_next_free_sgpr 31
		.amdhsa_reserve_vcc 1
		.amdhsa_reserve_flat_scratch 0
		.amdhsa_float_round_mode_32 0
		.amdhsa_float_round_mode_16_64 0
		.amdhsa_float_denorm_mode_32 3
		.amdhsa_float_denorm_mode_16_64 3
		.amdhsa_dx10_clamp 1
		.amdhsa_ieee_mode 1
		.amdhsa_fp16_overflow 0
		.amdhsa_workgroup_processor_mode 1
		.amdhsa_memory_ordered 1
		.amdhsa_forward_progress 1
		.amdhsa_shared_vgpr_count 0
		.amdhsa_exception_fp_ieee_invalid_op 0
		.amdhsa_exception_fp_denorm_src 0
		.amdhsa_exception_fp_ieee_div_zero 0
		.amdhsa_exception_fp_ieee_overflow 0
		.amdhsa_exception_fp_ieee_underflow 0
		.amdhsa_exception_fp_ieee_inexact 0
		.amdhsa_exception_int_div_zero 0
	.end_amdhsa_kernel
	.section	.text._ZL18rocblas_trtri_fillILi128EdPdEvP15_rocblas_handle13rocblas_fill_ililT1_llii,"axG",@progbits,_ZL18rocblas_trtri_fillILi128EdPdEvP15_rocblas_handle13rocblas_fill_ililT1_llii,comdat
.Lfunc_end4:
	.size	_ZL18rocblas_trtri_fillILi128EdPdEvP15_rocblas_handle13rocblas_fill_ililT1_llii, .Lfunc_end4-_ZL18rocblas_trtri_fillILi128EdPdEvP15_rocblas_handle13rocblas_fill_ililT1_llii
                                        ; -- End function
	.set _ZL18rocblas_trtri_fillILi128EdPdEvP15_rocblas_handle13rocblas_fill_ililT1_llii.num_vgpr, 26
	.set _ZL18rocblas_trtri_fillILi128EdPdEvP15_rocblas_handle13rocblas_fill_ililT1_llii.num_agpr, 0
	.set _ZL18rocblas_trtri_fillILi128EdPdEvP15_rocblas_handle13rocblas_fill_ililT1_llii.numbered_sgpr, 31
	.set _ZL18rocblas_trtri_fillILi128EdPdEvP15_rocblas_handle13rocblas_fill_ililT1_llii.num_named_barrier, 0
	.set _ZL18rocblas_trtri_fillILi128EdPdEvP15_rocblas_handle13rocblas_fill_ililT1_llii.private_seg_size, 0
	.set _ZL18rocblas_trtri_fillILi128EdPdEvP15_rocblas_handle13rocblas_fill_ililT1_llii.uses_vcc, 1
	.set _ZL18rocblas_trtri_fillILi128EdPdEvP15_rocblas_handle13rocblas_fill_ililT1_llii.uses_flat_scratch, 0
	.set _ZL18rocblas_trtri_fillILi128EdPdEvP15_rocblas_handle13rocblas_fill_ililT1_llii.has_dyn_sized_stack, 0
	.set _ZL18rocblas_trtri_fillILi128EdPdEvP15_rocblas_handle13rocblas_fill_ililT1_llii.has_recursion, 0
	.set _ZL18rocblas_trtri_fillILi128EdPdEvP15_rocblas_handle13rocblas_fill_ililT1_llii.has_indirect_call, 0
	.section	.AMDGPU.csdata,"",@progbits
; Kernel info:
; codeLenInByte = 2024
; TotalNumSgprs: 33
; NumVgprs: 26
; ScratchSize: 0
; MemoryBound: 0
; FloatMode: 240
; IeeeMode: 1
; LDSByteSize: 0 bytes/workgroup (compile time only)
; SGPRBlocks: 0
; VGPRBlocks: 3
; NumSGPRsForWavesPerEU: 33
; NumVGPRsForWavesPerEU: 26
; Occupancy: 16
; WaveLimiterHint : 0
; COMPUTE_PGM_RSRC2:SCRATCH_EN: 0
; COMPUTE_PGM_RSRC2:USER_SGPR: 6
; COMPUTE_PGM_RSRC2:TRAP_HANDLER: 0
; COMPUTE_PGM_RSRC2:TGID_X_EN: 1
; COMPUTE_PGM_RSRC2:TGID_Y_EN: 0
; COMPUTE_PGM_RSRC2:TGID_Z_EN: 1
; COMPUTE_PGM_RSRC2:TIDIG_COMP_CNT: 0
	.section	.text._ZL26rocblas_trtri_small_kernelILi16EdPKdPdEv13rocblas_fill_17rocblas_diagonal_iT1_lillT2_lilli,"axG",@progbits,_ZL26rocblas_trtri_small_kernelILi16EdPKdPdEv13rocblas_fill_17rocblas_diagonal_iT1_lillT2_lilli,comdat
	.globl	_ZL26rocblas_trtri_small_kernelILi16EdPKdPdEv13rocblas_fill_17rocblas_diagonal_iT1_lillT2_lilli ; -- Begin function _ZL26rocblas_trtri_small_kernelILi16EdPKdPdEv13rocblas_fill_17rocblas_diagonal_iT1_lillT2_lilli
	.p2align	8
	.type	_ZL26rocblas_trtri_small_kernelILi16EdPKdPdEv13rocblas_fill_17rocblas_diagonal_iT1_lillT2_lilli,@function
_ZL26rocblas_trtri_small_kernelILi16EdPKdPdEv13rocblas_fill_17rocblas_diagonal_iT1_lillT2_lilli: ; @_ZL26rocblas_trtri_small_kernelILi16EdPKdPdEv13rocblas_fill_17rocblas_diagonal_iT1_lillT2_lilli
; %bb.0:
	s_load_dwordx4 s[16:19], s[4:5], 0x0
	s_waitcnt lgkmcnt(0)
	s_cmp_lt_i32 s18, 1
	s_cbranch_scc1 .LBB5_36
; %bb.1:
	s_load_dwordx8 s[8:15], s[4:5], 0x28
	v_cmp_le_u32_e64 s1, s18, v0
	v_cmp_gt_u32_e64 s0, s18, v0
	s_and_saveexec_b32 s3, s0
	s_cbranch_execz .LBB5_9
; %bb.2:
	s_clause 0x1
	s_load_dwordx4 s[20:23], s[4:5], 0x10
	s_load_dword s24, s[4:5], 0x20
	s_waitcnt lgkmcnt(0)
	s_mul_i32 s2, s9, s7
	s_mul_hi_u32 s9, s8, s7
	s_mul_i32 s8, s8, s7
	s_add_i32 s9, s9, s2
	s_mul_i32 s2, s11, s6
	s_mul_hi_u32 s11, s10, s6
	s_mul_i32 s10, s10, s6
	s_add_i32 s11, s11, s2
	s_cmpk_lg_i32 s16, 0x7a
	s_mov_b32 s2, -1
	s_cbranch_scc0 .LBB5_6
; %bb.3:
	s_add_i32 s2, s18, -1
	s_ashr_i32 s25, s24, 31
	s_lshl_b64 s[26:27], s[10:11], 3
	s_lshl_b64 s[28:29], s[8:9], 3
	s_lshl_b32 s19, s18, 3
	s_add_u32 s28, s26, s28
	s_mul_i32 s26, s25, s2
	s_mul_hi_u32 s30, s24, s2
	s_addc_u32 s29, s27, s29
	s_add_i32 s27, s30, s26
	s_mul_i32 s26, s24, s2
	v_sub_nc_u32_e32 v1, s2, v0
	s_lshl_b64 s[26:27], s[26:27], 3
	s_add_u32 s2, s28, s26
	s_addc_u32 s28, s29, s27
	s_lshl_b64 s[26:27], s[22:23], 3
	v_lshlrev_b32_e32 v3, 3, v1
	v_lshlrev_b32_e32 v1, 3, v0
	s_add_u32 s2, s2, s26
	s_addc_u32 s26, s28, s27
	s_add_u32 s2, s20, s2
	s_addc_u32 s28, s21, s26
	v_add_co_u32 v1, s2, s2, v1
	s_lshl_b64 s[26:27], s[24:25], 3
	v_add_co_ci_u32_e64 v2, null, s28, 0, s2
	s_sub_u32 s25, 0, s26
	s_subb_u32 s27, 0, s27
	s_mov_b32 s26, 0
	s_mov_b32 s28, s18
.LBB5_4:                                ; =>This Inner Loop Header: Depth=1
	global_load_dwordx2 v[4:5], v[1:2], off
	s_add_i32 s28, s28, -1
	v_add_co_u32 v1, vcc_lo, v1, s25
	v_cmp_le_u32_e64 s2, s28, v0
	v_add_co_ci_u32_e64 v2, null, s27, v2, vcc_lo
	s_or_b32 s26, s2, s26
	s_waitcnt vmcnt(0)
	ds_write_b64 v3, v[4:5]
	v_add_nc_u32_e32 v3, s19, v3
	s_andn2_b32 exec_lo, exec_lo, s26
	s_cbranch_execnz .LBB5_4
; %bb.5:
	s_or_b32 exec_lo, exec_lo, s26
	s_mov_b32 s2, 0
.LBB5_6:
	s_and_b32 vcc_lo, exec_lo, s2
	s_cbranch_vccz .LBB5_9
; %bb.7:
	s_lshl_b64 s[8:9], s[8:9], 3
	v_lshlrev_b32_e32 v3, 3, v0
	s_add_u32 s2, s20, s8
	s_addc_u32 s19, s21, s9
	s_lshl_b64 s[8:9], s[22:23], 3
	v_add_nc_u32_e32 v4, 1, v0
	s_add_u32 s2, s2, s8
	s_addc_u32 s19, s19, s9
	s_lshl_b64 s[8:9], s[10:11], 3
	s_mov_b32 s11, 0
	s_add_u32 s2, s2, s8
	s_addc_u32 s8, s19, s9
	v_add_co_u32 v1, s2, s2, v3
	v_add_co_ci_u32_e64 v2, null, s8, 0, s2
	s_ashr_i32 s25, s24, 31
	s_lshl_b32 s10, s18, 3
	s_lshl_b64 s[8:9], s[24:25], 3
.LBB5_8:                                ; =>This Inner Loop Header: Depth=1
	global_load_dwordx2 v[5:6], v[1:2], off
	v_add_nc_u32_e32 v4, -1, v4
	v_add_co_u32 v1, vcc_lo, v1, s8
	v_add_co_ci_u32_e64 v2, null, s9, v2, vcc_lo
	v_cmp_eq_u32_e64 s2, 0, v4
	s_or_b32 s11, s2, s11
	s_waitcnt vmcnt(0)
	ds_write_b64 v3, v[5:6]
	v_add_nc_u32_e32 v3, s10, v3
	s_andn2_b32 exec_lo, exec_lo, s11
	s_cbranch_execnz .LBB5_8
.LBB5_9:
	s_or_b32 exec_lo, exec_lo, s3
	s_waitcnt lgkmcnt(0)
	; wave barrier
	buffer_gl0_inv
                                        ; implicit-def: $vgpr1
	s_and_saveexec_b32 s2, s1
	s_xor_b32 s1, exec_lo, s2
; %bb.10:
	v_mad_u64_u32 v[1:2], null, v0, s18, v[0:1]
; %bb.11:
	s_andn2_saveexec_b32 s1, s1
	s_cbranch_execz .LBB5_17
; %bb.12:
	v_mad_u64_u32 v[1:2], null, v0, s18, v[0:1]
	v_mov_b32_e32 v2, 0
	v_mov_b32_e32 v3, 0x3ff00000
	s_cmpk_eq_i32 s17, 0x84
	v_lshlrev_b32_e32 v6, 3, v1
	s_cbranch_scc1 .LBB5_16
; %bb.13:
	ds_read_b64 v[4:5], v6
	v_mov_b32_e32 v2, 0
	v_mov_b32_e32 v3, 0x3ff00000
	s_mov_b32 s2, exec_lo
	s_waitcnt lgkmcnt(0)
	v_cmpx_neq_f64_e32 0, v[4:5]
	s_cbranch_execz .LBB5_15
; %bb.14:
	v_div_scale_f64 v[2:3], null, v[4:5], v[4:5], 1.0
	v_rcp_f64_e32 v[7:8], v[2:3]
	v_fma_f64 v[9:10], -v[2:3], v[7:8], 1.0
	v_fma_f64 v[7:8], v[7:8], v[9:10], v[7:8]
	v_fma_f64 v[9:10], -v[2:3], v[7:8], 1.0
	v_fma_f64 v[7:8], v[7:8], v[9:10], v[7:8]
	v_div_scale_f64 v[9:10], vcc_lo, 1.0, v[4:5], 1.0
	v_mul_f64 v[11:12], v[9:10], v[7:8]
	v_fma_f64 v[2:3], -v[2:3], v[11:12], v[9:10]
	v_div_fmas_f64 v[2:3], v[2:3], v[7:8], v[11:12]
	v_div_fixup_f64 v[2:3], v[2:3], v[4:5], 1.0
.LBB5_15:
	s_or_b32 exec_lo, exec_lo, s2
.LBB5_16:
	ds_write_b64 v6, v[2:3]
.LBB5_17:
	s_or_b32 exec_lo, exec_lo, s1
	v_lshlrev_b32_e32 v3, 3, v0
	s_lshl_b32 s1, s18, 3
	v_lshlrev_b32_e32 v4, 3, v1
	s_mov_b32 s2, 8
	s_add_i32 s3, s1, 8
	v_add_nc_u32_e32 v5, s1, v3
	s_mov_b32 s8, 0
	s_waitcnt lgkmcnt(0)
	; wave barrier
	buffer_gl0_inv
	s_branch .LBB5_19
.LBB5_18:                               ;   in Loop: Header=BB5_19 Depth=1
	s_inst_prefetch 0x2
	v_add_nc_u32_e32 v5, s1, v5
	s_add_i32 s2, s2, s3
	s_cmp_eq_u32 s8, s18
	; wave barrier
	buffer_gl0_inv
	s_cbranch_scc1 .LBB5_28
.LBB5_19:                               ; =>This Loop Header: Depth=1
                                        ;     Child Loop BB5_24 Depth 2
	v_mov_b32_e32 v1, 0
	v_mov_b32_e32 v2, 0
	s_mul_i32 s9, s8, s18
	s_mov_b32 s10, exec_lo
	v_cmpx_lt_u32_e64 s8, v0
	s_cbranch_execz .LBB5_21
; %bb.20:                               ;   in Loop: Header=BB5_19 Depth=1
	s_lshl_b32 s11, s8, 3
	s_lshl_b32 s17, s9, 3
	s_add_i32 s11, s11, s17
	v_add_nc_u32_e32 v1, s17, v3
	v_mov_b32_e32 v6, s11
	ds_read_b64 v[1:2], v1
	ds_read_b64 v[6:7], v6
	s_waitcnt lgkmcnt(0)
	v_fma_f64 v[1:2], v[1:2], v[6:7], 0
.LBB5_21:                               ;   in Loop: Header=BB5_19 Depth=1
	s_or_b32 exec_lo, exec_lo, s10
	s_add_i32 s8, s8, 1
	s_cmp_ge_i32 s8, s18
	; wave barrier
	buffer_gl0_inv
	s_cbranch_scc1 .LBB5_18
; %bb.22:                               ;   in Loop: Header=BB5_19 Depth=1
	v_lshl_add_u32 v6, s9, 3, v3
	v_mov_b32_e32 v7, v5
	s_mov_b32 s9, s2
	s_mov_b32 s10, s8
	s_inst_prefetch 0x1
	s_branch .LBB5_24
	.p2align	6
.LBB5_23:                               ;   in Loop: Header=BB5_24 Depth=2
	s_or_b32 exec_lo, exec_lo, s11
	v_add_nc_u32_e32 v7, s1, v7
	s_add_i32 s10, s10, 1
	s_add_i32 s9, s9, 8
	s_cmp_eq_u32 s18, s10
	; wave barrier
	buffer_gl0_inv
	s_cbranch_scc1 .LBB5_18
.LBB5_24:                               ;   Parent Loop BB5_19 Depth=1
                                        ; =>  This Inner Loop Header: Depth=2
	s_mov_b32 s11, exec_lo
	v_cmpx_eq_u32_e64 s10, v0
	s_cbranch_execz .LBB5_26
; %bb.25:                               ;   in Loop: Header=BB5_24 Depth=2
	v_add_f64 v[8:9], -v[1:2], 0
	ds_read_b64 v[10:11], v4
	s_waitcnt lgkmcnt(0)
	v_mul_f64 v[8:9], v[8:9], v[10:11]
	ds_write_b64 v6, v[8:9]
.LBB5_26:                               ;   in Loop: Header=BB5_24 Depth=2
	s_or_b32 exec_lo, exec_lo, s11
	s_mov_b32 s11, exec_lo
	s_waitcnt lgkmcnt(0)
	; wave barrier
	buffer_gl0_inv
	v_cmpx_lt_u32_e64 s10, v0
	s_cbranch_execz .LBB5_23
; %bb.27:                               ;   in Loop: Header=BB5_24 Depth=2
	v_mov_b32_e32 v10, s9
	ds_read_b64 v[8:9], v7
	ds_read_b64 v[10:11], v10
	s_waitcnt lgkmcnt(0)
	v_fma_f64 v[1:2], v[8:9], v[10:11], v[1:2]
	s_branch .LBB5_23
.LBB5_28:
	s_and_saveexec_b32 s2, s0
	s_cbranch_execz .LBB5_36
; %bb.29:
	s_clause 0x1
	s_load_dwordx4 s[8:11], s[4:5], 0x50
	s_load_dword s2, s[4:5], 0x48
	s_waitcnt lgkmcnt(0)
	s_mul_i32 s0, s9, s7
	s_mul_hi_u32 s3, s8, s7
	s_mul_i32 s4, s8, s7
	s_mul_i32 s7, s11, s6
	s_mul_hi_u32 s8, s10, s6
	s_add_i32 s5, s3, s0
	s_add_i32 s7, s8, s7
	s_mul_i32 s6, s10, s6
	s_cmpk_lg_i32 s16, 0x7a
	s_mov_b32 s0, -1
	s_cbranch_scc0 .LBB5_33
; %bb.30:
	s_add_i32 s0, s18, -1
	s_lshl_b64 s[8:9], s[6:7], 3
	s_lshl_b64 s[10:11], s[4:5], 3
	s_ashr_i32 s3, s2, 31
	s_add_u32 s10, s8, s10
	s_mul_i32 s8, s3, s0
	s_mul_hi_u32 s16, s2, s0
	s_addc_u32 s11, s9, s11
	s_add_i32 s9, s16, s8
	s_mul_i32 s8, s2, s0
	v_sub_nc_u32_e32 v1, s0, v0
	s_lshl_b64 s[8:9], s[8:9], 3
	s_add_u32 s0, s10, s8
	s_addc_u32 s10, s11, s9
	s_lshl_b64 s[8:9], s[14:15], 3
	v_lshlrev_b32_e32 v4, 3, v1
	v_lshlrev_b32_e32 v1, 3, v0
	s_add_u32 s0, s0, s8
	s_addc_u32 s8, s10, s9
	s_add_u32 s0, s12, s0
	s_addc_u32 s10, s13, s8
	v_add_co_u32 v1, s0, s0, v1
	s_lshl_b64 s[8:9], s[2:3], 3
	v_add_co_ci_u32_e64 v2, null, s10, 0, s0
	s_sub_u32 s3, 0, s8
	s_subb_u32 s9, 0, s9
	s_mov_b32 s8, 0
.LBB5_31:                               ; =>This Inner Loop Header: Depth=1
	ds_read_b64 v[5:6], v4
	s_add_i32 s18, s18, -1
	v_add_nc_u32_e32 v4, s1, v4
	v_cmp_le_u32_e32 vcc_lo, s18, v0
	s_or_b32 s8, vcc_lo, s8
	s_waitcnt lgkmcnt(0)
	global_store_dwordx2 v[1:2], v[5:6], off
	v_add_co_u32 v1, s0, v1, s3
	v_add_co_ci_u32_e64 v2, null, s9, v2, s0
	s_andn2_b32 exec_lo, exec_lo, s8
	s_cbranch_execnz .LBB5_31
; %bb.32:
	s_or_b32 exec_lo, exec_lo, s8
	s_mov_b32 s0, 0
.LBB5_33:
	s_and_b32 vcc_lo, exec_lo, s0
	s_cbranch_vccz .LBB5_36
; %bb.34:
	s_lshl_b64 s[4:5], s[4:5], 3
	v_lshlrev_b32_e32 v1, 3, v0
	s_add_u32 s0, s12, s4
	s_addc_u32 s3, s13, s5
	s_lshl_b64 s[4:5], s[14:15], 3
	v_add_nc_u32_e32 v0, 1, v0
	s_add_u32 s0, s0, s4
	s_addc_u32 s3, s3, s5
	s_lshl_b64 s[4:5], s[6:7], 3
	s_add_u32 s0, s0, s4
	s_addc_u32 s4, s3, s5
	v_add_co_u32 v1, s0, s0, v1
	v_add_co_ci_u32_e64 v2, null, s4, 0, s0
	s_ashr_i32 s3, s2, 31
	s_mov_b32 s4, 0
	s_lshl_b64 s[2:3], s[2:3], 3
.LBB5_35:                               ; =>This Inner Loop Header: Depth=1
	ds_read_b64 v[4:5], v3
	v_add_nc_u32_e32 v0, -1, v0
	v_add_nc_u32_e32 v3, s1, v3
	v_cmp_eq_u32_e32 vcc_lo, 0, v0
	s_or_b32 s4, vcc_lo, s4
	s_waitcnt lgkmcnt(0)
	global_store_dwordx2 v[1:2], v[4:5], off
	v_add_co_u32 v1, s0, v1, s2
	v_add_co_ci_u32_e64 v2, null, s3, v2, s0
	s_andn2_b32 exec_lo, exec_lo, s4
	s_cbranch_execnz .LBB5_35
.LBB5_36:
	s_endpgm
	.section	.rodata,"a",@progbits
	.p2align	6, 0x0
	.amdhsa_kernel _ZL26rocblas_trtri_small_kernelILi16EdPKdPdEv13rocblas_fill_17rocblas_diagonal_iT1_lillT2_lilli
		.amdhsa_group_segment_fixed_size 2048
		.amdhsa_private_segment_fixed_size 0
		.amdhsa_kernarg_size 100
		.amdhsa_user_sgpr_count 6
		.amdhsa_user_sgpr_private_segment_buffer 1
		.amdhsa_user_sgpr_dispatch_ptr 0
		.amdhsa_user_sgpr_queue_ptr 0
		.amdhsa_user_sgpr_kernarg_segment_ptr 1
		.amdhsa_user_sgpr_dispatch_id 0
		.amdhsa_user_sgpr_flat_scratch_init 0
		.amdhsa_user_sgpr_private_segment_size 0
		.amdhsa_wavefront_size32 1
		.amdhsa_uses_dynamic_stack 0
		.amdhsa_system_sgpr_private_segment_wavefront_offset 0
		.amdhsa_system_sgpr_workgroup_id_x 1
		.amdhsa_system_sgpr_workgroup_id_y 0
		.amdhsa_system_sgpr_workgroup_id_z 1
		.amdhsa_system_sgpr_workgroup_info 0
		.amdhsa_system_vgpr_workitem_id 0
		.amdhsa_next_free_vgpr 13
		.amdhsa_next_free_sgpr 31
		.amdhsa_reserve_vcc 1
		.amdhsa_reserve_flat_scratch 0
		.amdhsa_float_round_mode_32 0
		.amdhsa_float_round_mode_16_64 0
		.amdhsa_float_denorm_mode_32 3
		.amdhsa_float_denorm_mode_16_64 3
		.amdhsa_dx10_clamp 1
		.amdhsa_ieee_mode 1
		.amdhsa_fp16_overflow 0
		.amdhsa_workgroup_processor_mode 1
		.amdhsa_memory_ordered 1
		.amdhsa_forward_progress 1
		.amdhsa_shared_vgpr_count 0
		.amdhsa_exception_fp_ieee_invalid_op 0
		.amdhsa_exception_fp_denorm_src 0
		.amdhsa_exception_fp_ieee_div_zero 0
		.amdhsa_exception_fp_ieee_overflow 0
		.amdhsa_exception_fp_ieee_underflow 0
		.amdhsa_exception_fp_ieee_inexact 0
		.amdhsa_exception_int_div_zero 0
	.end_amdhsa_kernel
	.section	.text._ZL26rocblas_trtri_small_kernelILi16EdPKdPdEv13rocblas_fill_17rocblas_diagonal_iT1_lillT2_lilli,"axG",@progbits,_ZL26rocblas_trtri_small_kernelILi16EdPKdPdEv13rocblas_fill_17rocblas_diagonal_iT1_lillT2_lilli,comdat
.Lfunc_end5:
	.size	_ZL26rocblas_trtri_small_kernelILi16EdPKdPdEv13rocblas_fill_17rocblas_diagonal_iT1_lillT2_lilli, .Lfunc_end5-_ZL26rocblas_trtri_small_kernelILi16EdPKdPdEv13rocblas_fill_17rocblas_diagonal_iT1_lillT2_lilli
                                        ; -- End function
	.set _ZL26rocblas_trtri_small_kernelILi16EdPKdPdEv13rocblas_fill_17rocblas_diagonal_iT1_lillT2_lilli.num_vgpr, 13
	.set _ZL26rocblas_trtri_small_kernelILi16EdPKdPdEv13rocblas_fill_17rocblas_diagonal_iT1_lillT2_lilli.num_agpr, 0
	.set _ZL26rocblas_trtri_small_kernelILi16EdPKdPdEv13rocblas_fill_17rocblas_diagonal_iT1_lillT2_lilli.numbered_sgpr, 31
	.set _ZL26rocblas_trtri_small_kernelILi16EdPKdPdEv13rocblas_fill_17rocblas_diagonal_iT1_lillT2_lilli.num_named_barrier, 0
	.set _ZL26rocblas_trtri_small_kernelILi16EdPKdPdEv13rocblas_fill_17rocblas_diagonal_iT1_lillT2_lilli.private_seg_size, 0
	.set _ZL26rocblas_trtri_small_kernelILi16EdPKdPdEv13rocblas_fill_17rocblas_diagonal_iT1_lillT2_lilli.uses_vcc, 1
	.set _ZL26rocblas_trtri_small_kernelILi16EdPKdPdEv13rocblas_fill_17rocblas_diagonal_iT1_lillT2_lilli.uses_flat_scratch, 0
	.set _ZL26rocblas_trtri_small_kernelILi16EdPKdPdEv13rocblas_fill_17rocblas_diagonal_iT1_lillT2_lilli.has_dyn_sized_stack, 0
	.set _ZL26rocblas_trtri_small_kernelILi16EdPKdPdEv13rocblas_fill_17rocblas_diagonal_iT1_lillT2_lilli.has_recursion, 0
	.set _ZL26rocblas_trtri_small_kernelILi16EdPKdPdEv13rocblas_fill_17rocblas_diagonal_iT1_lillT2_lilli.has_indirect_call, 0
	.section	.AMDGPU.csdata,"",@progbits
; Kernel info:
; codeLenInByte = 1452
; TotalNumSgprs: 33
; NumVgprs: 13
; ScratchSize: 0
; MemoryBound: 0
; FloatMode: 240
; IeeeMode: 1
; LDSByteSize: 2048 bytes/workgroup (compile time only)
; SGPRBlocks: 0
; VGPRBlocks: 1
; NumSGPRsForWavesPerEU: 33
; NumVGPRsForWavesPerEU: 13
; Occupancy: 16
; WaveLimiterHint : 0
; COMPUTE_PGM_RSRC2:SCRATCH_EN: 0
; COMPUTE_PGM_RSRC2:USER_SGPR: 6
; COMPUTE_PGM_RSRC2:TRAP_HANDLER: 0
; COMPUTE_PGM_RSRC2:TGID_X_EN: 1
; COMPUTE_PGM_RSRC2:TGID_Y_EN: 0
; COMPUTE_PGM_RSRC2:TGID_Z_EN: 1
; COMPUTE_PGM_RSRC2:TIDIG_COMP_CNT: 0
	.section	.text._ZL29rocblas_trtri_diagonal_kernelILi16EdPKdPdEv13rocblas_fill_17rocblas_diagonal_iT1_lillT2_lilli,"axG",@progbits,_ZL29rocblas_trtri_diagonal_kernelILi16EdPKdPdEv13rocblas_fill_17rocblas_diagonal_iT1_lillT2_lilli,comdat
	.globl	_ZL29rocblas_trtri_diagonal_kernelILi16EdPKdPdEv13rocblas_fill_17rocblas_diagonal_iT1_lillT2_lilli ; -- Begin function _ZL29rocblas_trtri_diagonal_kernelILi16EdPKdPdEv13rocblas_fill_17rocblas_diagonal_iT1_lillT2_lilli
	.p2align	8
	.type	_ZL29rocblas_trtri_diagonal_kernelILi16EdPKdPdEv13rocblas_fill_17rocblas_diagonal_iT1_lillT2_lilli,@function
_ZL29rocblas_trtri_diagonal_kernelILi16EdPKdPdEv13rocblas_fill_17rocblas_diagonal_iT1_lillT2_lilli: ; @_ZL29rocblas_trtri_diagonal_kernelILi16EdPKdPdEv13rocblas_fill_17rocblas_diagonal_iT1_lillT2_lilli
; %bb.0:
	s_load_dwordx4 s[16:19], s[4:5], 0x0
	s_waitcnt lgkmcnt(0)
	s_ashr_i32 s0, s18, 31
	s_lshr_b32 s0, s0, 27
	s_add_i32 s0, s18, s0
	s_ashr_i32 s0, s0, 5
	v_cvt_f32_u32_e32 v1, s0
	s_sub_i32 s2, 0, s0
	v_rcp_iflag_f32_e32 v1, v1
	v_mul_f32_e32 v1, 0x4f7ffffe, v1
	v_cvt_u32_f32_e32 v1, v1
	v_readfirstlane_b32 s1, v1
	s_mul_i32 s2, s2, s1
	s_mul_hi_u32 s2, s1, s2
	s_add_i32 s1, s1, s2
	s_mul_hi_u32 s1, s6, s1
	s_mul_i32 s2, s1, s0
	s_add_i32 s3, s1, 1
	s_sub_i32 s2, s6, s2
	s_sub_i32 s8, s2, s0
	s_cmp_ge_u32 s2, s0
	s_cselect_b32 s1, s3, s1
	s_cselect_b32 s2, s8, s2
	s_add_i32 s3, s1, 1
	s_cmp_ge_u32 s2, s0
	s_cselect_b32 s28, s3, s1
	s_mul_i32 s0, s28, s0
	s_sub_i32 s29, s6, s0
	s_lshl_b32 s0, s29, 4
	s_cmp_eq_u32 s18, s0
	s_cbranch_scc1 .LBB6_89
; %bb.1:
	s_sub_i32 s27, s18, s0
	v_mov_b32_e32 v1, v0
	s_min_u32 s26, s27, 16
	s_lshl_b32 s6, s26, 1
	v_cmp_gt_u32_e64 s2, s26, v0
	v_cmp_le_u32_e64 s0, s26, v0
	v_cmp_gt_u32_e64 s1, s6, v0
	v_cmp_le_u32_e32 vcc_lo, s6, v0
	s_and_saveexec_b32 s3, s0
	s_cbranch_execz .LBB6_7
; %bb.2:
                                        ; implicit-def: $vgpr1
	s_and_saveexec_b32 s8, vcc_lo
	s_xor_b32 s8, exec_lo, s8
; %bb.3:
	v_subrev_nc_u32_e32 v1, s6, v0
; %bb.4:
	s_andn2_saveexec_b32 s6, s8
; %bb.5:
	v_subrev_nc_u32_e32 v1, s26, v0
; %bb.6:
	s_or_b32 exec_lo, exec_lo, s6
.LBB6_7:
	s_or_b32 exec_lo, exec_lo, s3
	s_clause 0x2
	s_load_dword s18, s[4:5], 0x20
	s_load_dwordx8 s[8:15], s[4:5], 0x28
	s_load_dwordx4 s[20:23], s[4:5], 0x10
	v_cndmask_b32_e64 v2, 0, 0x1800, s1
	v_cndmask_b32_e64 v9, v2, 0x1000, s2
	s_waitcnt lgkmcnt(0)
	s_ashr_i32 s19, s18, 31
	s_mul_i32 s3, s9, s7
	s_mul_hi_u32 s6, s8, s7
	s_mul_i32 s2, s8, s7
	s_lshl_b64 s[8:9], s[18:19], 5
	s_add_i32 s3, s6, s3
	s_add_u32 s6, s8, 32
	s_mul_i32 s11, s11, s28
	s_mul_hi_u32 s24, s10, s28
	s_addc_u32 s8, s9, 0
	s_add_i32 s11, s24, s11
	s_mul_hi_u32 s9, s6, s29
	s_mul_i32 s24, s8, s29
	s_mul_i32 s8, s6, s29
	s_add_i32 s9, s9, s24
	s_mul_i32 s10, s10, s28
	s_and_saveexec_b32 s6, vcc_lo
	s_xor_b32 s6, exec_lo, s6
	s_cbranch_execz .LBB6_17
; %bb.8:
	s_mul_i32 s24, s26, 3
	s_mov_b32 s30, exec_lo
	v_cmpx_gt_u32_e64 s24, v0
	s_cbranch_execz .LBB6_16
; %bb.9:
	s_cmpk_eq_i32 s16, 0x7a
	s_mov_b32 s24, -1
	s_cbranch_scc1 .LBB6_13
; %bb.10:
	s_add_i32 s34, s26, -1
	s_lshl_b32 s33, s26, 3
	s_mul_i32 s25, s26, s34
	s_lshl_b64 s[36:37], s[10:11], 3
	s_lshl_b64 s[38:39], s[2:3], 3
	s_add_i32 s24, s26, 1
	s_lshl_b32 s31, s25, 3
	s_sub_i32 s25, 0, s33
	s_add_u32 s38, s36, s38
	s_addc_u32 s39, s37, s39
	s_lshl_b64 s[36:37], s[8:9], 3
	s_mov_b32 s35, 0
	v_lshlrev_b32_e32 v3, 3, v1
	s_add_u32 s36, s38, s36
	s_addc_u32 s37, s39, s37
	s_lshl_b64 s[34:35], s[34:35], 3
	v_ashrrev_i32_e32 v2, 31, v1
	s_add_u32 s33, s33, s34
	v_add3_u32 v4, s31, v3, v9
	s_mul_i32 s31, s33, s19
	s_mul_hi_u32 s34, s33, s18
	s_addc_u32 s35, 0, s35
	s_add_i32 s31, s34, s31
	s_mul_i32 s35, s35, s18
	s_mul_i32 s33, s33, s18
	s_add_i32 s31, s31, s35
	s_add_u32 s33, s36, s33
	s_addc_u32 s31, s37, s31
	s_lshl_b64 s[34:35], s[22:23], 3
	v_lshlrev_b64 v[2:3], 3, v[1:2]
	s_add_u32 s33, s33, s34
	s_addc_u32 s31, s31, s35
	s_add_u32 s33, s20, s33
	s_addc_u32 s31, s21, s31
	s_lshl_b64 s[34:35], s[18:19], 3
	v_add_co_u32 v2, vcc_lo, s33, v2
	v_add_co_ci_u32_e64 v3, null, s31, v3, vcc_lo
	s_sub_u32 s31, 0, s34
	s_subb_u32 s33, 0, s35
.LBB6_11:                               ; =>This Inner Loop Header: Depth=1
	global_load_dwordx2 v[5:6], v[2:3], off
	v_add_co_u32 v2, vcc_lo, v2, s31
	v_add_co_ci_u32_e64 v3, null, s33, v3, vcc_lo
	s_add_i32 s24, s24, -1
	s_cmp_gt_u32 s24, 1
	s_waitcnt vmcnt(0)
	ds_write_b64 v4, v[5:6]
	v_add_nc_u32_e32 v4, s25, v4
	s_cbranch_scc1 .LBB6_11
; %bb.12:
	s_mov_b32 s24, 0
.LBB6_13:
	s_and_b32 vcc_lo, exec_lo, s24
	s_cbranch_vccz .LBB6_16
; %bb.14:
	v_add_nc_u32_e32 v2, s26, v1
	s_lshl_b64 s[24:25], s[2:3], 3
	v_lshl_add_u32 v4, v1, 3, v9
	s_add_u32 s31, s20, s24
	s_addc_u32 s33, s21, s25
	v_ashrrev_i32_e32 v3, 31, v2
	s_lshl_b64 s[24:25], s[22:23], 3
	s_add_u32 s31, s31, s24
	s_addc_u32 s33, s33, s25
	s_lshl_b64 s[24:25], s[8:9], 3
	v_lshlrev_b64 v[2:3], 3, v[2:3]
	s_add_u32 s31, s31, s24
	s_addc_u32 s33, s33, s25
	s_lshl_b64 s[24:25], s[10:11], 3
	s_add_u32 s24, s31, s24
	s_addc_u32 s25, s33, s25
	v_add_co_u32 v2, vcc_lo, s24, v2
	v_add_co_ci_u32_e64 v3, null, s25, v3, vcc_lo
	s_lshl_b32 s31, s26, 3
	s_lshl_b64 s[24:25], s[18:19], 3
	s_mov_b32 s33, s26
.LBB6_15:                               ; =>This Inner Loop Header: Depth=1
	global_load_dwordx2 v[5:6], v[2:3], off
	v_add_co_u32 v2, vcc_lo, v2, s24
	v_add_co_ci_u32_e64 v3, null, s25, v3, vcc_lo
	s_add_i32 s33, s33, -1
	s_cmp_eq_u32 s33, 0
	s_waitcnt vmcnt(0)
	ds_write_b64 v4, v[5:6]
	v_add_nc_u32_e32 v4, s31, v4
	s_cbranch_scc0 .LBB6_15
.LBB6_16:
	s_or_b32 exec_lo, exec_lo, s30
.LBB6_17:
	s_andn2_saveexec_b32 s6, s6
	s_cbranch_execz .LBB6_31
; %bb.18:
	v_mov_b32_e32 v2, 0
	v_mov_b32_e32 v3, 0
	s_and_saveexec_b32 s24, s0
; %bb.19:
	s_add_u32 s25, s18, 1
	s_addc_u32 s30, s19, 0
	s_mul_hi_u32 s31, s25, s26
	s_mul_i32 s30, s30, s26
	s_add_i32 s31, s31, s30
	s_mul_i32 s30, s25, s26
	v_mov_b32_e32 v2, s30
	v_mov_b32_e32 v3, s31
; %bb.20:
	s_or_b32 exec_lo, exec_lo, s24
	v_lshlrev_b64 v[3:4], 3, v[2:3]
	s_cmpk_lg_i32 s16, 0x7a
	s_mov_b32 s24, -1
	s_cbranch_scc0 .LBB6_26
; %bb.21:
	s_lshl_b64 s[24:25], s[10:11], 3
	s_lshl_b64 s[30:31], s[2:3], 3
	s_add_i32 s33, s26, -1
	s_add_u32 s30, s24, s30
	s_addc_u32 s31, s25, s31
	s_lshl_b64 s[24:25], s[8:9], 3
	s_mul_hi_u32 s34, s18, s33
	s_add_u32 s30, s30, s24
	s_mul_i32 s24, s19, s33
	s_addc_u32 s31, s31, s25
	s_add_i32 s25, s34, s24
	s_mul_i32 s24, s18, s33
	v_ashrrev_i32_e32 v2, 31, v1
	s_lshl_b64 s[24:25], s[24:25], 3
	v_sub_nc_u32_e32 v7, s33, v1
	s_add_u32 s30, s30, s24
	s_addc_u32 s31, s31, s25
	s_lshl_b64 s[24:25], s[22:23], 3
	v_lshlrev_b64 v[5:6], 3, v[1:2]
	s_add_u32 s24, s24, s30
	s_addc_u32 s25, s25, s31
	v_add_co_u32 v8, vcc_lo, s24, v3
	v_add_co_ci_u32_e64 v10, null, s25, v4, vcc_lo
	v_lshl_add_u32 v2, v7, 3, v9
	v_add_co_u32 v5, vcc_lo, v8, v5
	v_add_co_ci_u32_e64 v6, null, v10, v6, vcc_lo
	s_lshl_b64 s[24:25], s[18:19], 3
	v_add_co_u32 v5, vcc_lo, s20, v5
	v_add_co_ci_u32_e64 v6, null, s21, v6, vcc_lo
	s_sub_u32 s24, 0, s24
	s_subb_u32 s25, 0, s25
	s_lshl_b32 s30, s26, 3
	s_mov_b32 s31, s26
	s_branch .LBB6_23
	.p2align	6
.LBB6_22:                               ;   in Loop: Header=BB6_23 Depth=1
	s_or_b32 exec_lo, exec_lo, s33
	v_add_co_u32 v5, vcc_lo, v5, s24
	s_waitcnt vmcnt(0)
	ds_write_b64 v2, v[7:8]
	v_add_co_ci_u32_e64 v6, null, s25, v6, vcc_lo
	v_add_nc_u32_e32 v2, s30, v2
	s_cmp_lt_i32 s31, 1
	s_cbranch_scc1 .LBB6_25
.LBB6_23:                               ; =>This Inner Loop Header: Depth=1
	v_mov_b32_e32 v7, 0
	v_mov_b32_e32 v8, 0
	s_add_i32 s31, s31, -1
	s_mov_b32 s33, exec_lo
	v_cmpx_ge_i32_e64 s31, v1
	s_cbranch_execz .LBB6_22
; %bb.24:                               ;   in Loop: Header=BB6_23 Depth=1
	global_load_dwordx2 v[7:8], v[5:6], off
	s_branch .LBB6_22
.LBB6_25:
	s_mov_b32 s24, 0
.LBB6_26:
	s_and_b32 vcc_lo, exec_lo, s24
	s_cbranch_vccz .LBB6_31
; %bb.27:
	s_lshl_b64 s[10:11], s[10:11], 3
	s_lshl_b64 s[2:3], s[2:3], 3
	v_ashrrev_i32_e32 v2, 31, v1
	s_add_u32 s10, s10, s2
	s_addc_u32 s11, s11, s3
	s_lshl_b64 s[2:3], s[8:9], 3
	s_add_u32 s8, s10, s2
	s_addc_u32 s9, s11, s3
	s_lshl_b64 s[2:3], s[22:23], 3
	v_lshlrev_b64 v[5:6], 3, v[1:2]
	s_add_u32 s2, s2, s8
	s_addc_u32 s3, s3, s9
	v_add_co_u32 v2, vcc_lo, s2, v3
	v_add_co_ci_u32_e64 v3, null, s3, v4, vcc_lo
	s_lshl_b64 s[2:3], s[18:19], 3
	v_add_co_u32 v2, vcc_lo, v2, v5
	v_add_co_ci_u32_e64 v3, null, v3, v6, vcc_lo
	v_lshl_add_u32 v6, v1, 3, v9
	v_add_co_u32 v2, vcc_lo, s20, v2
	v_add_co_ci_u32_e64 v3, null, s21, v3, vcc_lo
	s_lshl_b32 s8, s26, 3
	s_mov_b32 s9, 0
	s_branch .LBB6_29
	.p2align	6
.LBB6_28:                               ;   in Loop: Header=BB6_29 Depth=1
	s_or_b32 exec_lo, exec_lo, s10
	v_add_co_u32 v2, vcc_lo, v2, s2
	s_waitcnt vmcnt(0)
	ds_write_b64 v6, v[4:5]
	v_add_co_ci_u32_e64 v3, null, s3, v3, vcc_lo
	v_add_nc_u32_e32 v6, s8, v6
	s_add_i32 s9, s9, 1
	s_cmp_eq_u32 s26, s9
	s_cbranch_scc1 .LBB6_31
.LBB6_29:                               ; =>This Inner Loop Header: Depth=1
	v_mov_b32_e32 v4, 0
	v_mov_b32_e32 v5, 0
	s_mov_b32 s10, exec_lo
	v_cmpx_le_i32_e64 s9, v1
	s_cbranch_execz .LBB6_28
; %bb.30:                               ;   in Loop: Header=BB6_29 Depth=1
	global_load_dwordx2 v[4:5], v[2:3], off
	s_branch .LBB6_28
.LBB6_31:
	s_or_b32 exec_lo, exec_lo, s6
	s_waitcnt lgkmcnt(0)
	s_barrier
	buffer_gl0_inv
	s_and_saveexec_b32 s2, s1
	s_cbranch_execz .LBB6_37
; %bb.32:
	s_add_i32 s3, s26, 1
	v_mov_b32_e32 v2, 0
	v_mul_i32_i24_e32 v4, s3, v1
	v_mov_b32_e32 v3, 0x3ff00000
	s_cmpk_eq_i32 s17, 0x84
	v_lshl_add_u32 v6, v4, 3, v9
	s_cbranch_scc1 .LBB6_36
; %bb.33:
	ds_read_b64 v[4:5], v6
	v_mov_b32_e32 v2, 0
	v_mov_b32_e32 v3, 0x3ff00000
	s_mov_b32 s3, exec_lo
	s_waitcnt lgkmcnt(0)
	v_cmpx_neq_f64_e32 0, v[4:5]
	s_cbranch_execz .LBB6_35
; %bb.34:
	v_div_scale_f64 v[2:3], null, v[4:5], v[4:5], 1.0
	v_rcp_f64_e32 v[7:8], v[2:3]
	v_fma_f64 v[10:11], -v[2:3], v[7:8], 1.0
	v_fma_f64 v[7:8], v[7:8], v[10:11], v[7:8]
	v_fma_f64 v[10:11], -v[2:3], v[7:8], 1.0
	v_fma_f64 v[7:8], v[7:8], v[10:11], v[7:8]
	v_div_scale_f64 v[10:11], vcc_lo, 1.0, v[4:5], 1.0
	v_mul_f64 v[12:13], v[10:11], v[7:8]
	v_fma_f64 v[2:3], -v[2:3], v[12:13], v[10:11]
	v_div_fmas_f64 v[2:3], v[2:3], v[7:8], v[12:13]
	v_div_fixup_f64 v[2:3], v[2:3], v[4:5], 1.0
.LBB6_35:
	s_or_b32 exec_lo, exec_lo, s3
.LBB6_36:
	ds_write_b64 v6, v[2:3]
.LBB6_37:
	s_or_b32 exec_lo, exec_lo, s2
	s_waitcnt lgkmcnt(0)
	s_barrier
	buffer_gl0_inv
	s_and_saveexec_b32 s2, s1
	s_cbranch_execz .LBB6_49
; %bb.38:
	s_add_i32 s3, s26, 1
	v_lshlrev_b32_e32 v2, 3, v1
	v_mul_i32_i24_e32 v3, s3, v1
	s_lshl_b32 s3, s26, 3
	v_add_nc_u32_e32 v4, 8, v9
	s_add_i32 s6, s3, 8
	v_add_nc_u32_e32 v5, v9, v2
	v_lshl_add_u32 v6, v3, 3, v9
	v_add3_u32 v7, v2, s3, v9
	s_mov_b32 s8, 0
	s_branch .LBB6_40
.LBB6_39:                               ;   in Loop: Header=BB6_40 Depth=1
	s_inst_prefetch 0x2
	v_add_nc_u32_e32 v4, s6, v4
	v_add_nc_u32_e32 v7, s3, v7
	s_cmp_eq_u32 s8, s26
	s_cbranch_scc1 .LBB6_49
.LBB6_40:                               ; =>This Loop Header: Depth=1
                                        ;     Child Loop BB6_45 Depth 2
	v_mov_b32_e32 v2, 0
	v_mov_b32_e32 v3, 0
	s_mul_i32 s9, s8, s26
	s_mov_b32 s10, exec_lo
	v_cmpx_lt_i32_e64 s8, v1
	s_cbranch_execz .LBB6_42
; %bb.41:                               ;   in Loop: Header=BB6_40 Depth=1
	s_lshl_b32 s11, s9, 3
	s_lshl_b32 s17, s8, 3
	v_add_nc_u32_e32 v2, s11, v5
	v_add3_u32 v8, s11, s17, v9
	ds_read_b64 v[2:3], v2
	ds_read_b64 v[10:11], v8
	s_waitcnt lgkmcnt(0)
	v_fma_f64 v[2:3], v[2:3], v[10:11], 0
.LBB6_42:                               ;   in Loop: Header=BB6_40 Depth=1
	s_or_b32 exec_lo, exec_lo, s10
	s_add_i32 s8, s8, 1
	s_cmp_ge_u32 s8, s26
	s_cbranch_scc1 .LBB6_39
; %bb.43:                               ;   in Loop: Header=BB6_40 Depth=1
	v_lshl_add_u32 v8, s9, 3, v5
	v_mov_b32_e32 v10, v7
	v_mov_b32_e32 v11, v4
	s_mov_b32 s9, s8
	s_inst_prefetch 0x1
	s_branch .LBB6_45
	.p2align	6
.LBB6_44:                               ;   in Loop: Header=BB6_45 Depth=2
	s_or_b32 exec_lo, exec_lo, s10
	v_add_nc_u32_e32 v11, 8, v11
	v_add_nc_u32_e32 v10, s3, v10
	s_add_i32 s9, s9, 1
	s_cmp_eq_u32 s26, s9
	s_cbranch_scc1 .LBB6_39
.LBB6_45:                               ;   Parent Loop BB6_40 Depth=1
                                        ; =>  This Inner Loop Header: Depth=2
	s_mov_b32 s10, exec_lo
	v_cmpx_eq_u32_e64 s9, v1
	s_cbranch_execz .LBB6_47
; %bb.46:                               ;   in Loop: Header=BB6_45 Depth=2
	v_add_f64 v[12:13], -v[2:3], 0
	ds_read_b64 v[14:15], v6
	s_waitcnt lgkmcnt(0)
	v_mul_f64 v[12:13], v[12:13], v[14:15]
	ds_write_b64 v8, v[12:13]
.LBB6_47:                               ;   in Loop: Header=BB6_45 Depth=2
	s_or_b32 exec_lo, exec_lo, s10
	s_mov_b32 s10, exec_lo
	v_cmpx_lt_i32_e64 s9, v1
	s_cbranch_execz .LBB6_44
; %bb.48:                               ;   in Loop: Header=BB6_45 Depth=2
	ds_read_b64 v[12:13], v10
	ds_read_b64 v[14:15], v11
	s_waitcnt lgkmcnt(0)
	v_fma_f64 v[2:3], v[12:13], v[14:15], v[2:3]
	s_branch .LBB6_44
.LBB6_49:
	s_or_b32 exec_lo, exec_lo, s2
	s_and_b32 s2, s26, 0xffff
	v_cvt_f32_ubyte0_e32 v4, v0
	v_cvt_f32_u32_e32 v2, s2
	s_mul_i32 s2, s26, s26
	s_cmpk_lg_i32 s16, 0x7a
	v_cmp_gt_u32_e64 s2, s2, v0
	s_cselect_b32 s3, -1, 0
	v_rcp_iflag_f32_e32 v3, v2
	s_mov_b32 s6, -1
	s_waitcnt lgkmcnt(0)
	s_barrier
	buffer_gl0_inv
	v_mul_f32_e32 v3, v4, v3
	v_trunc_f32_e32 v3, v3
	v_fma_f32 v4, -v3, v2, v4
	v_cvt_u32_f32_e32 v3, v3
	v_cmp_ge_f32_e64 vcc_lo, |v4|, v2
	v_add_co_ci_u32_e64 v2, null, 0, v3, vcc_lo
	s_and_b32 vcc_lo, exec_lo, s3
	v_mul_lo_u16 v3, v2, s26
	v_and_b32_e32 v4, 0xffff, v2
	v_sub_nc_u16 v3, v0, v3
	v_and_b32_e32 v0, 0xffff, v3
	s_cbranch_vccz .LBB6_55
; %bb.50:
	s_and_saveexec_b32 s6, s2
	s_cbranch_execz .LBB6_54
; %bb.51:
	v_lshlrev_b32_e32 v5, 7, v4
	v_mov_b32_e32 v2, 0
	v_lshlrev_b32_e32 v6, 3, v0
	v_mov_b32_e32 v3, 0
	s_mov_b32 s9, -1
	v_sub_nc_u32_e32 v7, 0x1ff8, v5
	s_mov_b32 s8, 0
.LBB6_52:                               ; =>This Inner Loop Header: Depth=1
	ds_read_b64 v[10:11], v6
	ds_read_b64 v[12:13], v7
	s_add_i32 s9, s9, 1
	v_add_nc_u32_e32 v7, -8, v7
	v_cmp_ge_u32_e32 vcc_lo, s9, v4
	v_add_nc_u32_e32 v6, 0x80, v6
	s_or_b32 s8, vcc_lo, s8
	s_waitcnt lgkmcnt(0)
	v_fma_f64 v[2:3], v[10:11], v[12:13], v[2:3]
	s_andn2_b32 exec_lo, exec_lo, s8
	s_cbranch_execnz .LBB6_52
; %bb.53:
	s_or_b32 exec_lo, exec_lo, s8
	v_lshl_add_u32 v5, v0, 3, v5
	ds_write_b64 v5, v[2:3] offset:2048
.LBB6_54:
	s_or_b32 exec_lo, exec_lo, s6
	s_mov_b32 s6, 0
.LBB6_55:
	s_andn2_b32 vcc_lo, exec_lo, s6
	s_cbranch_vccnz .LBB6_65
; %bb.56:
	s_and_saveexec_b32 s6, s2
	s_cbranch_execz .LBB6_64
; %bb.57:
	v_lshlrev_b32_e32 v5, 7, v4
	s_mov_b32 s8, exec_lo
	v_cmpx_lt_u16_e32 15, v4
	s_xor_b32 s8, exec_lo, s8
; %bb.58:
	v_lshlrev_b32_e32 v5, 7, v4
; %bb.59:
	s_or_saveexec_b32 s8, s8
	v_mov_b32_e32 v2, 0
	v_mov_b32_e32 v3, 0
	s_xor_b32 exec_lo, exec_lo, s8
	s_cbranch_execz .LBB6_63
; %bb.60:
	s_movk_i32 s9, 0x88
	v_mov_b32_e32 v2, 0
	v_add_nc_u32_e32 v6, -1, v4
	v_mad_u32_u24 v7, v4, s9, 0x1000
	v_mov_b32_e32 v3, 0
	v_lshl_add_u32 v8, v0, 3, v5
	s_mov_b32 s9, 0
.LBB6_61:                               ; =>This Inner Loop Header: Depth=1
	ds_read_b64 v[10:11], v8
	ds_read_b64 v[12:13], v7
	v_add_nc_u32_e32 v6, 1, v6
	v_add_nc_u32_e32 v7, 8, v7
	;; [unrolled: 1-line block ×3, first 2 shown]
	v_cmp_lt_u32_e32 vcc_lo, 14, v6
	s_or_b32 s9, vcc_lo, s9
	s_waitcnt lgkmcnt(0)
	v_fma_f64 v[2:3], v[10:11], v[12:13], v[2:3]
	s_andn2_b32 exec_lo, exec_lo, s9
	s_cbranch_execnz .LBB6_61
; %bb.62:
	s_or_b32 exec_lo, exec_lo, s9
.LBB6_63:
	s_or_b32 exec_lo, exec_lo, s8
	v_lshl_add_u32 v5, v0, 3, v5
	ds_write_b64 v5, v[2:3] offset:2048
.LBB6_64:
	s_or_b32 exec_lo, exec_lo, s6
.LBB6_65:
	s_clause 0x1
	s_load_dwordx4 s[8:11], s[4:5], 0x50
	s_load_dword s4, s[4:5], 0x48
	s_waitcnt lgkmcnt(0)
	s_barrier
	buffer_gl0_inv
	s_mul_i32 s5, s9, s7
	s_mul_hi_u32 s9, s8, s7
	s_mul_i32 s6, s8, s7
	s_add_i32 s7, s9, s5
	s_ashr_i32 s5, s4, 31
	s_lshl_b64 s[8:9], s[6:7], 3
	s_mul_i32 s11, s11, s28
	s_add_u32 s16, s12, s8
	s_addc_u32 s17, s13, s9
	s_lshl_b64 s[6:7], s[14:15], 3
	s_add_u32 s16, s16, s6
	s_addc_u32 s17, s17, s7
	s_lshl_b64 s[14:15], s[4:5], 5
	s_add_u32 s14, s14, 32
	s_addc_u32 s15, s15, 0
	s_mul_hi_u32 s18, s14, s29
	s_mul_i32 s15, s15, s29
	s_mul_i32 s14, s14, s29
	s_add_i32 s15, s18, s15
	s_mul_hi_u32 s18, s10, s28
	s_lshl_b64 s[14:15], s[14:15], 3
	s_mul_i32 s10, s10, s28
	s_add_u32 s16, s16, s14
	s_addc_u32 s17, s17, s15
	s_add_i32 s11, s18, s11
	s_mov_b32 s18, -1
	s_lshl_b64 s[10:11], s[10:11], 3
	s_add_u32 s16, s16, s10
	s_addc_u32 s17, s17, s11
	s_and_b32 vcc_lo, exec_lo, s3
	s_cbranch_vccnz .LBB6_68
; %bb.66:
	s_andn2_b32 vcc_lo, exec_lo, s18
	s_cbranch_vccz .LBB6_73
.LBB6_67:
	s_and_saveexec_b32 s2, s1
	s_cbranch_execnz .LBB6_78
	s_branch .LBB6_89
.LBB6_68:
	s_and_saveexec_b32 s18, s2
	s_cbranch_execz .LBB6_72
; %bb.69:
	v_lshlrev_b32_e32 v5, 3, v0
	s_lshl_b32 s20, s26, 3
	v_mul_u32_u24_e32 v3, s26, v4
	v_add_nc_u32_e32 v6, -1, v0
	s_mov_b32 s19, 0
	v_sub_nc_u32_e32 v2, s20, v5
	s_sub_i32 s20, 0, s20
	v_lshlrev_b32_e32 v3, 3, v3
	v_mul_i32_i24_e32 v2, s26, v2
	v_add3_u32 v7, v3, v5, 0x800
	v_sub_nc_u32_e32 v8, v2, v5
	v_mov_b32_e32 v2, 0
	v_mov_b32_e32 v3, 0
	v_add_nc_u32_e32 v8, 0xff8, v8
.LBB6_70:                               ; =>This Inner Loop Header: Depth=1
	ds_read_b64 v[10:11], v8
	ds_read_b64 v[12:13], v7
	v_add_nc_u32_e32 v6, 1, v6
	v_add_nc_u32_e32 v7, 8, v7
	;; [unrolled: 1-line block ×3, first 2 shown]
	v_cmp_lt_u32_e32 vcc_lo, 14, v6
	s_or_b32 s19, vcc_lo, s19
	s_waitcnt lgkmcnt(0)
	v_fma_f64 v[2:3], -v[10:11], v[12:13], v[2:3]
	s_andn2_b32 exec_lo, exec_lo, s19
	s_cbranch_execnz .LBB6_70
; %bb.71:
	s_or_b32 exec_lo, exec_lo, s19
	v_mad_i64_i32 v[6:7], null, v4, s4, 0
	s_mul_hi_i32 s21, s26, s4
	s_mul_i32 s20, s26, s4
	s_lshl_b64 s[20:21], s[20:21], 3
	s_add_u32 s19, s16, s20
	v_lshlrev_b64 v[6:7], 3, v[6:7]
	s_addc_u32 s20, s17, s21
	v_add_co_u32 v5, s19, s19, v5
	v_add_co_ci_u32_e64 v8, null, s20, 0, s19
	v_add_co_u32 v5, vcc_lo, v5, v6
	v_add_co_ci_u32_e64 v6, null, v8, v7, vcc_lo
	global_store_dwordx2 v[5:6], v[2:3], off
.LBB6_72:
	s_or_b32 exec_lo, exec_lo, s18
	s_cbranch_execnz .LBB6_67
.LBB6_73:
	s_and_saveexec_b32 s18, s2
	s_cbranch_execz .LBB6_77
; %bb.74:
	v_mul_u32_u24_e32 v6, s26, v4
	v_mov_b32_e32 v2, 0
	v_lshl_add_u32 v5, v0, 3, 0x1800
	v_mov_b32_e32 v3, 0
	s_lshl_b32 s2, s26, 3
	v_lshl_add_u32 v6, v6, 3, 0x800
	s_mov_b32 s20, -1
	s_mov_b32 s19, 0
.LBB6_75:                               ; =>This Inner Loop Header: Depth=1
	ds_read_b64 v[7:8], v5
	ds_read_b64 v[10:11], v6
	s_add_i32 s20, s20, 1
	v_add_nc_u32_e32 v6, 8, v6
	v_cmp_ge_u32_e32 vcc_lo, s20, v0
	v_add_nc_u32_e32 v5, s2, v5
	s_or_b32 s19, vcc_lo, s19
	s_waitcnt lgkmcnt(0)
	v_fma_f64 v[2:3], -v[7:8], v[10:11], v[2:3]
	s_andn2_b32 exec_lo, exec_lo, s19
	s_cbranch_execnz .LBB6_75
; %bb.76:
	s_or_b32 exec_lo, exec_lo, s19
	v_mad_i64_i32 v[4:5], null, v4, s4, 0
	v_add_lshl_u32 v0, s26, v0, 3
	v_lshlrev_b64 v[4:5], 3, v[4:5]
	v_add_co_u32 v4, vcc_lo, s16, v4
	v_add_co_ci_u32_e64 v5, null, s17, v5, vcc_lo
	v_add_co_u32 v4, vcc_lo, v4, v0
	v_add_co_ci_u32_e64 v5, null, 0, v5, vcc_lo
	global_store_dwordx2 v[4:5], v[2:3], off
.LBB6_77:
	s_or_b32 exec_lo, exec_lo, s18
	s_and_saveexec_b32 s2, s1
	s_cbranch_execz .LBB6_89
.LBB6_78:
	v_mov_b32_e32 v3, 0
	v_mov_b32_e32 v4, 0
	s_and_saveexec_b32 s1, s0
	s_cbranch_execnz .LBB6_81
; %bb.79:
	s_or_b32 exec_lo, exec_lo, s1
	s_and_b32 vcc_lo, exec_lo, s3
	s_mov_b32 s0, -1
	s_cbranch_vccnz .LBB6_82
.LBB6_80:
	s_andn2_b32 vcc_lo, exec_lo, s0
	s_cbranch_vccz .LBB6_86
	s_branch .LBB6_89
.LBB6_81:
	s_add_u32 s0, s4, 1
	s_addc_u32 s2, s5, 0
	s_mul_hi_u32 s18, s0, s26
	s_mul_i32 s2, s2, s26
	s_add_i32 s19, s18, s2
	s_mul_i32 s18, s0, s26
	v_mov_b32_e32 v3, s18
	v_mov_b32_e32 v4, s19
	s_or_b32 exec_lo, exec_lo, s1
	s_and_b32 vcc_lo, exec_lo, s3
	s_mov_b32 s0, -1
	s_cbranch_vccz .LBB6_80
.LBB6_82:
	s_mov_b32 s1, exec_lo
	v_cmpx_gt_i32_e64 s26, v1
	s_cbranch_execz .LBB6_85
; %bb.83:
	s_cmp_lt_u32 s27, 16
	v_ashrrev_i32_e32 v2, 31, v1
	s_cselect_b32 s0, s27, 16
	s_cselect_b32 s2, 0, 0
	s_add_u32 s0, s0, -1
	s_addc_u32 s2, s2, -1
	s_mul_i32 s3, s0, s5
	s_mul_hi_u32 s18, s0, s4
	s_mul_i32 s2, s2, s4
	s_add_i32 s3, s18, s3
	v_lshlrev_b64 v[5:6], 3, v[3:4]
	s_add_i32 s3, s3, s2
	s_mul_i32 s2, s0, s4
	v_lshlrev_b64 v[7:8], 3, v[1:2]
	s_lshl_b64 s[2:3], s[2:3], 3
	v_xad_u32 v0, v1, -1, s26
	s_add_u32 s0, s2, s10
	s_addc_u32 s2, s3, s11
	s_add_u32 s0, s0, s8
	s_addc_u32 s2, s2, s9
	;; [unrolled: 2-line block ×4, first 2 shown]
	v_add_co_u32 v2, vcc_lo, s0, v5
	v_add_co_ci_u32_e64 v5, null, s2, v6, vcc_lo
	v_lshl_add_u32 v0, v0, 3, v9
	v_add_co_u32 v2, vcc_lo, v2, v7
	v_add_co_ci_u32_e64 v6, null, v5, v8, vcc_lo
	s_lshl_b64 s[6:7], s[4:5], 3
	v_add_co_u32 v5, vcc_lo, s12, v2
	v_add_co_ci_u32_e64 v6, null, s13, v6, vcc_lo
	s_sub_u32 s3, 0, s6
	s_mov_b32 s2, 0
	s_subb_u32 s6, 0, s7
	s_lshl_b32 s7, s26, 3
	s_mov_b32 s8, s26
.LBB6_84:                               ; =>This Inner Loop Header: Depth=1
	ds_read_b64 v[7:8], v0
	s_add_i32 s8, s8, -1
	v_add_nc_u32_e32 v0, s7, v0
	v_cmp_le_i32_e32 vcc_lo, s8, v1
	s_or_b32 s2, vcc_lo, s2
	s_waitcnt lgkmcnt(0)
	global_store_dwordx2 v[5:6], v[7:8], off
	v_add_co_u32 v5, s0, v5, s3
	v_add_co_ci_u32_e64 v6, null, s6, v6, s0
	s_andn2_b32 exec_lo, exec_lo, s2
	s_cbranch_execnz .LBB6_84
.LBB6_85:
	s_or_b32 exec_lo, exec_lo, s1
	s_cbranch_execnz .LBB6_89
.LBB6_86:
	v_cmp_lt_i32_e32 vcc_lo, -1, v1
	s_and_b32 exec_lo, exec_lo, vcc_lo
	s_cbranch_execz .LBB6_89
; %bb.87:
	v_mov_b32_e32 v2, 0
	v_lshlrev_b64 v[3:4], 3, v[3:4]
	v_lshl_add_u32 v0, v1, 3, v9
	s_lshl_b64 s[2:3], s[4:5], 3
	s_lshl_b32 s1, s26, 3
	v_lshlrev_b64 v[5:6], 3, v[1:2]
	v_add_nc_u32_e32 v1, 1, v1
	v_add_co_u32 v2, vcc_lo, s16, v3
	v_add_co_ci_u32_e64 v3, null, s17, v4, vcc_lo
	s_mov_b32 s4, 0
	v_add_co_u32 v2, vcc_lo, v2, v5
	v_add_co_ci_u32_e64 v3, null, v3, v6, vcc_lo
.LBB6_88:                               ; =>This Inner Loop Header: Depth=1
	ds_read_b64 v[4:5], v0
	v_add_nc_u32_e32 v1, -1, v1
	v_add_nc_u32_e32 v0, s1, v0
	v_cmp_eq_u32_e32 vcc_lo, 0, v1
	s_or_b32 s4, vcc_lo, s4
	s_waitcnt lgkmcnt(0)
	global_store_dwordx2 v[2:3], v[4:5], off
	v_add_co_u32 v2, s0, v2, s2
	v_add_co_ci_u32_e64 v3, null, s3, v3, s0
	s_andn2_b32 exec_lo, exec_lo, s4
	s_cbranch_execnz .LBB6_88
.LBB6_89:
	s_endpgm
	.section	.rodata,"a",@progbits
	.p2align	6, 0x0
	.amdhsa_kernel _ZL29rocblas_trtri_diagonal_kernelILi16EdPKdPdEv13rocblas_fill_17rocblas_diagonal_iT1_lillT2_lilli
		.amdhsa_group_segment_fixed_size 8192
		.amdhsa_private_segment_fixed_size 0
		.amdhsa_kernarg_size 100
		.amdhsa_user_sgpr_count 6
		.amdhsa_user_sgpr_private_segment_buffer 1
		.amdhsa_user_sgpr_dispatch_ptr 0
		.amdhsa_user_sgpr_queue_ptr 0
		.amdhsa_user_sgpr_kernarg_segment_ptr 1
		.amdhsa_user_sgpr_dispatch_id 0
		.amdhsa_user_sgpr_flat_scratch_init 0
		.amdhsa_user_sgpr_private_segment_size 0
		.amdhsa_wavefront_size32 1
		.amdhsa_uses_dynamic_stack 0
		.amdhsa_system_sgpr_private_segment_wavefront_offset 0
		.amdhsa_system_sgpr_workgroup_id_x 1
		.amdhsa_system_sgpr_workgroup_id_y 0
		.amdhsa_system_sgpr_workgroup_id_z 1
		.amdhsa_system_sgpr_workgroup_info 0
		.amdhsa_system_vgpr_workitem_id 0
		.amdhsa_next_free_vgpr 16
		.amdhsa_next_free_sgpr 40
		.amdhsa_reserve_vcc 1
		.amdhsa_reserve_flat_scratch 0
		.amdhsa_float_round_mode_32 0
		.amdhsa_float_round_mode_16_64 0
		.amdhsa_float_denorm_mode_32 3
		.amdhsa_float_denorm_mode_16_64 3
		.amdhsa_dx10_clamp 1
		.amdhsa_ieee_mode 1
		.amdhsa_fp16_overflow 0
		.amdhsa_workgroup_processor_mode 1
		.amdhsa_memory_ordered 1
		.amdhsa_forward_progress 1
		.amdhsa_shared_vgpr_count 0
		.amdhsa_exception_fp_ieee_invalid_op 0
		.amdhsa_exception_fp_denorm_src 0
		.amdhsa_exception_fp_ieee_div_zero 0
		.amdhsa_exception_fp_ieee_overflow 0
		.amdhsa_exception_fp_ieee_underflow 0
		.amdhsa_exception_fp_ieee_inexact 0
		.amdhsa_exception_int_div_zero 0
	.end_amdhsa_kernel
	.section	.text._ZL29rocblas_trtri_diagonal_kernelILi16EdPKdPdEv13rocblas_fill_17rocblas_diagonal_iT1_lillT2_lilli,"axG",@progbits,_ZL29rocblas_trtri_diagonal_kernelILi16EdPKdPdEv13rocblas_fill_17rocblas_diagonal_iT1_lillT2_lilli,comdat
.Lfunc_end6:
	.size	_ZL29rocblas_trtri_diagonal_kernelILi16EdPKdPdEv13rocblas_fill_17rocblas_diagonal_iT1_lillT2_lilli, .Lfunc_end6-_ZL29rocblas_trtri_diagonal_kernelILi16EdPKdPdEv13rocblas_fill_17rocblas_diagonal_iT1_lillT2_lilli
                                        ; -- End function
	.set _ZL29rocblas_trtri_diagonal_kernelILi16EdPKdPdEv13rocblas_fill_17rocblas_diagonal_iT1_lillT2_lilli.num_vgpr, 16
	.set _ZL29rocblas_trtri_diagonal_kernelILi16EdPKdPdEv13rocblas_fill_17rocblas_diagonal_iT1_lillT2_lilli.num_agpr, 0
	.set _ZL29rocblas_trtri_diagonal_kernelILi16EdPKdPdEv13rocblas_fill_17rocblas_diagonal_iT1_lillT2_lilli.numbered_sgpr, 40
	.set _ZL29rocblas_trtri_diagonal_kernelILi16EdPKdPdEv13rocblas_fill_17rocblas_diagonal_iT1_lillT2_lilli.num_named_barrier, 0
	.set _ZL29rocblas_trtri_diagonal_kernelILi16EdPKdPdEv13rocblas_fill_17rocblas_diagonal_iT1_lillT2_lilli.private_seg_size, 0
	.set _ZL29rocblas_trtri_diagonal_kernelILi16EdPKdPdEv13rocblas_fill_17rocblas_diagonal_iT1_lillT2_lilli.uses_vcc, 1
	.set _ZL29rocblas_trtri_diagonal_kernelILi16EdPKdPdEv13rocblas_fill_17rocblas_diagonal_iT1_lillT2_lilli.uses_flat_scratch, 0
	.set _ZL29rocblas_trtri_diagonal_kernelILi16EdPKdPdEv13rocblas_fill_17rocblas_diagonal_iT1_lillT2_lilli.has_dyn_sized_stack, 0
	.set _ZL29rocblas_trtri_diagonal_kernelILi16EdPKdPdEv13rocblas_fill_17rocblas_diagonal_iT1_lillT2_lilli.has_recursion, 0
	.set _ZL29rocblas_trtri_diagonal_kernelILi16EdPKdPdEv13rocblas_fill_17rocblas_diagonal_iT1_lillT2_lilli.has_indirect_call, 0
	.section	.AMDGPU.csdata,"",@progbits
; Kernel info:
; codeLenInByte = 3480
; TotalNumSgprs: 42
; NumVgprs: 16
; ScratchSize: 0
; MemoryBound: 0
; FloatMode: 240
; IeeeMode: 1
; LDSByteSize: 8192 bytes/workgroup (compile time only)
; SGPRBlocks: 0
; VGPRBlocks: 1
; NumSGPRsForWavesPerEU: 42
; NumVGPRsForWavesPerEU: 16
; Occupancy: 16
; WaveLimiterHint : 0
; COMPUTE_PGM_RSRC2:SCRATCH_EN: 0
; COMPUTE_PGM_RSRC2:USER_SGPR: 6
; COMPUTE_PGM_RSRC2:TRAP_HANDLER: 0
; COMPUTE_PGM_RSRC2:TGID_X_EN: 1
; COMPUTE_PGM_RSRC2:TGID_Y_EN: 0
; COMPUTE_PGM_RSRC2:TGID_Z_EN: 1
; COMPUTE_PGM_RSRC2:TIDIG_COMP_CNT: 0
	.section	.text._ZL30rocblas_trtri_remainder_kernelILi16EdPKdPdEv13rocblas_fill_17rocblas_diagonal_iT1_lillT2_lilli,"axG",@progbits,_ZL30rocblas_trtri_remainder_kernelILi16EdPKdPdEv13rocblas_fill_17rocblas_diagonal_iT1_lillT2_lilli,comdat
	.globl	_ZL30rocblas_trtri_remainder_kernelILi16EdPKdPdEv13rocblas_fill_17rocblas_diagonal_iT1_lillT2_lilli ; -- Begin function _ZL30rocblas_trtri_remainder_kernelILi16EdPKdPdEv13rocblas_fill_17rocblas_diagonal_iT1_lillT2_lilli
	.p2align	8
	.type	_ZL30rocblas_trtri_remainder_kernelILi16EdPKdPdEv13rocblas_fill_17rocblas_diagonal_iT1_lillT2_lilli,@function
_ZL30rocblas_trtri_remainder_kernelILi16EdPKdPdEv13rocblas_fill_17rocblas_diagonal_iT1_lillT2_lilli: ; @_ZL30rocblas_trtri_remainder_kernelILi16EdPKdPdEv13rocblas_fill_17rocblas_diagonal_iT1_lillT2_lilli
; %bb.0:
	s_load_dwordx4 s[16:19], s[4:5], 0x0
	s_waitcnt lgkmcnt(0)
	s_cmp_lt_i32 s18, 1
	s_cbranch_scc1 .LBB7_36
; %bb.1:
	s_load_dwordx8 s[8:15], s[4:5], 0x28
	v_cmp_le_u32_e64 s1, s18, v0
	v_cmp_gt_u32_e64 s0, s18, v0
	s_and_saveexec_b32 s3, s0
	s_cbranch_execz .LBB7_9
; %bb.2:
	s_clause 0x1
	s_load_dwordx4 s[20:23], s[4:5], 0x10
	s_load_dword s24, s[4:5], 0x20
	s_waitcnt lgkmcnt(0)
	s_mul_i32 s2, s9, s7
	s_mul_hi_u32 s9, s8, s7
	s_mul_i32 s8, s8, s7
	s_add_i32 s9, s9, s2
	s_mul_i32 s2, s11, s6
	s_mul_hi_u32 s11, s10, s6
	s_mul_i32 s10, s10, s6
	s_add_i32 s11, s11, s2
	s_cmpk_lg_i32 s16, 0x7a
	s_mov_b32 s2, -1
	s_cbranch_scc0 .LBB7_6
; %bb.3:
	s_add_i32 s2, s18, -1
	s_ashr_i32 s25, s24, 31
	s_lshl_b64 s[26:27], s[10:11], 3
	s_lshl_b64 s[28:29], s[8:9], 3
	s_lshl_b32 s19, s18, 3
	s_add_u32 s28, s26, s28
	s_mul_i32 s26, s25, s2
	s_mul_hi_u32 s30, s24, s2
	s_addc_u32 s29, s27, s29
	s_add_i32 s27, s30, s26
	s_mul_i32 s26, s24, s2
	v_sub_nc_u32_e32 v1, s2, v0
	s_lshl_b64 s[26:27], s[26:27], 3
	s_add_u32 s2, s28, s26
	s_addc_u32 s28, s29, s27
	s_lshl_b64 s[26:27], s[22:23], 3
	v_lshlrev_b32_e32 v3, 3, v1
	v_lshlrev_b32_e32 v1, 3, v0
	s_add_u32 s2, s2, s26
	s_addc_u32 s26, s28, s27
	s_add_u32 s2, s20, s2
	s_addc_u32 s28, s21, s26
	v_add_co_u32 v1, s2, s2, v1
	s_lshl_b64 s[26:27], s[24:25], 3
	v_add_co_ci_u32_e64 v2, null, s28, 0, s2
	s_sub_u32 s25, 0, s26
	s_subb_u32 s27, 0, s27
	s_mov_b32 s26, 0
	s_mov_b32 s28, s18
.LBB7_4:                                ; =>This Inner Loop Header: Depth=1
	global_load_dwordx2 v[4:5], v[1:2], off
	s_add_i32 s28, s28, -1
	v_add_co_u32 v1, vcc_lo, v1, s25
	v_cmp_le_u32_e64 s2, s28, v0
	v_add_co_ci_u32_e64 v2, null, s27, v2, vcc_lo
	s_or_b32 s26, s2, s26
	s_waitcnt vmcnt(0)
	ds_write_b64 v3, v[4:5]
	v_add_nc_u32_e32 v3, s19, v3
	s_andn2_b32 exec_lo, exec_lo, s26
	s_cbranch_execnz .LBB7_4
; %bb.5:
	s_or_b32 exec_lo, exec_lo, s26
	s_mov_b32 s2, 0
.LBB7_6:
	s_and_b32 vcc_lo, exec_lo, s2
	s_cbranch_vccz .LBB7_9
; %bb.7:
	s_lshl_b64 s[8:9], s[8:9], 3
	v_lshlrev_b32_e32 v3, 3, v0
	s_add_u32 s2, s20, s8
	s_addc_u32 s19, s21, s9
	s_lshl_b64 s[8:9], s[22:23], 3
	v_add_nc_u32_e32 v4, 1, v0
	s_add_u32 s2, s2, s8
	s_addc_u32 s19, s19, s9
	s_lshl_b64 s[8:9], s[10:11], 3
	s_mov_b32 s11, 0
	s_add_u32 s2, s2, s8
	s_addc_u32 s8, s19, s9
	v_add_co_u32 v1, s2, s2, v3
	v_add_co_ci_u32_e64 v2, null, s8, 0, s2
	s_ashr_i32 s25, s24, 31
	s_lshl_b32 s10, s18, 3
	s_lshl_b64 s[8:9], s[24:25], 3
.LBB7_8:                                ; =>This Inner Loop Header: Depth=1
	global_load_dwordx2 v[5:6], v[1:2], off
	v_add_nc_u32_e32 v4, -1, v4
	v_add_co_u32 v1, vcc_lo, v1, s8
	v_add_co_ci_u32_e64 v2, null, s9, v2, vcc_lo
	v_cmp_eq_u32_e64 s2, 0, v4
	s_or_b32 s11, s2, s11
	s_waitcnt vmcnt(0)
	ds_write_b64 v3, v[5:6]
	v_add_nc_u32_e32 v3, s10, v3
	s_andn2_b32 exec_lo, exec_lo, s11
	s_cbranch_execnz .LBB7_8
.LBB7_9:
	s_or_b32 exec_lo, exec_lo, s3
	s_waitcnt lgkmcnt(0)
	s_barrier
	buffer_gl0_inv
                                        ; implicit-def: $vgpr1
	s_and_saveexec_b32 s2, s1
	s_xor_b32 s1, exec_lo, s2
; %bb.10:
	v_mad_u64_u32 v[1:2], null, v0, s18, v[0:1]
; %bb.11:
	s_andn2_saveexec_b32 s1, s1
	s_cbranch_execz .LBB7_17
; %bb.12:
	v_mad_u64_u32 v[1:2], null, v0, s18, v[0:1]
	v_mov_b32_e32 v2, 0
	v_mov_b32_e32 v3, 0x3ff00000
	s_cmpk_eq_i32 s17, 0x84
	v_lshlrev_b32_e32 v6, 3, v1
	s_cbranch_scc1 .LBB7_16
; %bb.13:
	ds_read_b64 v[4:5], v6
	v_mov_b32_e32 v2, 0
	v_mov_b32_e32 v3, 0x3ff00000
	s_mov_b32 s2, exec_lo
	s_waitcnt lgkmcnt(0)
	v_cmpx_neq_f64_e32 0, v[4:5]
	s_cbranch_execz .LBB7_15
; %bb.14:
	v_div_scale_f64 v[2:3], null, v[4:5], v[4:5], 1.0
	v_rcp_f64_e32 v[7:8], v[2:3]
	v_fma_f64 v[9:10], -v[2:3], v[7:8], 1.0
	v_fma_f64 v[7:8], v[7:8], v[9:10], v[7:8]
	v_fma_f64 v[9:10], -v[2:3], v[7:8], 1.0
	v_fma_f64 v[7:8], v[7:8], v[9:10], v[7:8]
	v_div_scale_f64 v[9:10], vcc_lo, 1.0, v[4:5], 1.0
	v_mul_f64 v[11:12], v[9:10], v[7:8]
	v_fma_f64 v[2:3], -v[2:3], v[11:12], v[9:10]
	v_div_fmas_f64 v[2:3], v[2:3], v[7:8], v[11:12]
	v_div_fixup_f64 v[2:3], v[2:3], v[4:5], 1.0
.LBB7_15:
	s_or_b32 exec_lo, exec_lo, s2
.LBB7_16:
	ds_write_b64 v6, v[2:3]
.LBB7_17:
	s_or_b32 exec_lo, exec_lo, s1
	v_lshlrev_b32_e32 v3, 3, v0
	s_lshl_b32 s1, s18, 3
	v_lshlrev_b32_e32 v4, 3, v1
	s_mov_b32 s2, 8
	s_add_i32 s3, s1, 8
	v_add_nc_u32_e32 v5, s1, v3
	s_mov_b32 s8, 0
	s_waitcnt lgkmcnt(0)
	s_barrier
	buffer_gl0_inv
	s_branch .LBB7_19
.LBB7_18:                               ;   in Loop: Header=BB7_19 Depth=1
	s_inst_prefetch 0x2
	v_add_nc_u32_e32 v5, s1, v5
	s_add_i32 s2, s2, s3
	s_cmp_eq_u32 s8, s18
	s_barrier
	buffer_gl0_inv
	s_cbranch_scc1 .LBB7_28
.LBB7_19:                               ; =>This Loop Header: Depth=1
                                        ;     Child Loop BB7_24 Depth 2
	v_mov_b32_e32 v1, 0
	v_mov_b32_e32 v2, 0
	s_mul_i32 s9, s8, s18
	s_mov_b32 s10, exec_lo
	v_cmpx_lt_u32_e64 s8, v0
	s_cbranch_execz .LBB7_21
; %bb.20:                               ;   in Loop: Header=BB7_19 Depth=1
	s_lshl_b32 s11, s8, 3
	s_lshl_b32 s17, s9, 3
	s_add_i32 s11, s11, s17
	v_add_nc_u32_e32 v1, s17, v3
	v_mov_b32_e32 v6, s11
	ds_read_b64 v[1:2], v1
	ds_read_b64 v[6:7], v6
	s_waitcnt lgkmcnt(0)
	v_fma_f64 v[1:2], v[1:2], v[6:7], 0
.LBB7_21:                               ;   in Loop: Header=BB7_19 Depth=1
	s_or_b32 exec_lo, exec_lo, s10
	s_add_i32 s8, s8, 1
	s_cmp_ge_i32 s8, s18
	s_barrier
	buffer_gl0_inv
	s_cbranch_scc1 .LBB7_18
; %bb.22:                               ;   in Loop: Header=BB7_19 Depth=1
	v_lshl_add_u32 v6, s9, 3, v3
	v_mov_b32_e32 v7, v5
	s_mov_b32 s9, s2
	s_mov_b32 s10, s8
	s_inst_prefetch 0x1
	s_branch .LBB7_24
	.p2align	6
.LBB7_23:                               ;   in Loop: Header=BB7_24 Depth=2
	s_or_b32 exec_lo, exec_lo, s11
	v_add_nc_u32_e32 v7, s1, v7
	s_add_i32 s10, s10, 1
	s_add_i32 s9, s9, 8
	s_cmp_eq_u32 s18, s10
	s_barrier
	buffer_gl0_inv
	s_cbranch_scc1 .LBB7_18
.LBB7_24:                               ;   Parent Loop BB7_19 Depth=1
                                        ; =>  This Inner Loop Header: Depth=2
	s_mov_b32 s11, exec_lo
	v_cmpx_eq_u32_e64 s10, v0
	s_cbranch_execz .LBB7_26
; %bb.25:                               ;   in Loop: Header=BB7_24 Depth=2
	v_add_f64 v[8:9], -v[1:2], 0
	ds_read_b64 v[10:11], v4
	s_waitcnt lgkmcnt(0)
	v_mul_f64 v[8:9], v[8:9], v[10:11]
	ds_write_b64 v6, v[8:9]
.LBB7_26:                               ;   in Loop: Header=BB7_24 Depth=2
	s_or_b32 exec_lo, exec_lo, s11
	s_mov_b32 s11, exec_lo
	s_waitcnt lgkmcnt(0)
	s_barrier
	buffer_gl0_inv
	v_cmpx_lt_u32_e64 s10, v0
	s_cbranch_execz .LBB7_23
; %bb.27:                               ;   in Loop: Header=BB7_24 Depth=2
	v_mov_b32_e32 v10, s9
	ds_read_b64 v[8:9], v7
	ds_read_b64 v[10:11], v10
	s_waitcnt lgkmcnt(0)
	v_fma_f64 v[1:2], v[8:9], v[10:11], v[1:2]
	s_branch .LBB7_23
.LBB7_28:
	s_and_saveexec_b32 s2, s0
	s_cbranch_execz .LBB7_36
; %bb.29:
	s_clause 0x1
	s_load_dwordx4 s[8:11], s[4:5], 0x50
	s_load_dword s2, s[4:5], 0x48
	s_waitcnt lgkmcnt(0)
	s_mul_i32 s0, s9, s7
	s_mul_hi_u32 s3, s8, s7
	s_mul_i32 s4, s8, s7
	s_mul_i32 s7, s11, s6
	s_mul_hi_u32 s8, s10, s6
	s_add_i32 s5, s3, s0
	s_add_i32 s7, s8, s7
	s_mul_i32 s6, s10, s6
	s_cmpk_lg_i32 s16, 0x7a
	s_mov_b32 s0, -1
	s_cbranch_scc0 .LBB7_33
; %bb.30:
	s_add_i32 s0, s18, -1
	s_lshl_b64 s[8:9], s[6:7], 3
	s_lshl_b64 s[10:11], s[4:5], 3
	s_ashr_i32 s3, s2, 31
	s_add_u32 s10, s8, s10
	s_mul_i32 s8, s3, s0
	s_mul_hi_u32 s16, s2, s0
	s_addc_u32 s11, s9, s11
	s_add_i32 s9, s16, s8
	s_mul_i32 s8, s2, s0
	v_sub_nc_u32_e32 v1, s0, v0
	s_lshl_b64 s[8:9], s[8:9], 3
	s_add_u32 s0, s10, s8
	s_addc_u32 s10, s11, s9
	s_lshl_b64 s[8:9], s[14:15], 3
	v_lshlrev_b32_e32 v4, 3, v1
	v_lshlrev_b32_e32 v1, 3, v0
	s_add_u32 s0, s0, s8
	s_addc_u32 s8, s10, s9
	s_add_u32 s0, s12, s0
	s_addc_u32 s10, s13, s8
	v_add_co_u32 v1, s0, s0, v1
	s_lshl_b64 s[8:9], s[2:3], 3
	v_add_co_ci_u32_e64 v2, null, s10, 0, s0
	s_sub_u32 s3, 0, s8
	s_subb_u32 s9, 0, s9
	s_mov_b32 s8, 0
.LBB7_31:                               ; =>This Inner Loop Header: Depth=1
	ds_read_b64 v[5:6], v4
	s_add_i32 s18, s18, -1
	v_add_nc_u32_e32 v4, s1, v4
	v_cmp_le_u32_e32 vcc_lo, s18, v0
	s_or_b32 s8, vcc_lo, s8
	s_waitcnt lgkmcnt(0)
	global_store_dwordx2 v[1:2], v[5:6], off
	v_add_co_u32 v1, s0, v1, s3
	v_add_co_ci_u32_e64 v2, null, s9, v2, s0
	s_andn2_b32 exec_lo, exec_lo, s8
	s_cbranch_execnz .LBB7_31
; %bb.32:
	s_or_b32 exec_lo, exec_lo, s8
	s_mov_b32 s0, 0
.LBB7_33:
	s_and_b32 vcc_lo, exec_lo, s0
	s_cbranch_vccz .LBB7_36
; %bb.34:
	s_lshl_b64 s[4:5], s[4:5], 3
	v_lshlrev_b32_e32 v1, 3, v0
	s_add_u32 s0, s12, s4
	s_addc_u32 s3, s13, s5
	s_lshl_b64 s[4:5], s[14:15], 3
	v_add_nc_u32_e32 v0, 1, v0
	s_add_u32 s0, s0, s4
	s_addc_u32 s3, s3, s5
	s_lshl_b64 s[4:5], s[6:7], 3
	s_add_u32 s0, s0, s4
	s_addc_u32 s4, s3, s5
	v_add_co_u32 v1, s0, s0, v1
	v_add_co_ci_u32_e64 v2, null, s4, 0, s0
	s_ashr_i32 s3, s2, 31
	s_mov_b32 s4, 0
	s_lshl_b64 s[2:3], s[2:3], 3
.LBB7_35:                               ; =>This Inner Loop Header: Depth=1
	ds_read_b64 v[4:5], v3
	v_add_nc_u32_e32 v0, -1, v0
	v_add_nc_u32_e32 v3, s1, v3
	v_cmp_eq_u32_e32 vcc_lo, 0, v0
	s_or_b32 s4, vcc_lo, s4
	s_waitcnt lgkmcnt(0)
	global_store_dwordx2 v[1:2], v[4:5], off
	v_add_co_u32 v1, s0, v1, s2
	v_add_co_ci_u32_e64 v2, null, s3, v2, s0
	s_andn2_b32 exec_lo, exec_lo, s4
	s_cbranch_execnz .LBB7_35
.LBB7_36:
	s_endpgm
	.section	.rodata,"a",@progbits
	.p2align	6, 0x0
	.amdhsa_kernel _ZL30rocblas_trtri_remainder_kernelILi16EdPKdPdEv13rocblas_fill_17rocblas_diagonal_iT1_lillT2_lilli
		.amdhsa_group_segment_fixed_size 8192
		.amdhsa_private_segment_fixed_size 0
		.amdhsa_kernarg_size 100
		.amdhsa_user_sgpr_count 6
		.amdhsa_user_sgpr_private_segment_buffer 1
		.amdhsa_user_sgpr_dispatch_ptr 0
		.amdhsa_user_sgpr_queue_ptr 0
		.amdhsa_user_sgpr_kernarg_segment_ptr 1
		.amdhsa_user_sgpr_dispatch_id 0
		.amdhsa_user_sgpr_flat_scratch_init 0
		.amdhsa_user_sgpr_private_segment_size 0
		.amdhsa_wavefront_size32 1
		.amdhsa_uses_dynamic_stack 0
		.amdhsa_system_sgpr_private_segment_wavefront_offset 0
		.amdhsa_system_sgpr_workgroup_id_x 1
		.amdhsa_system_sgpr_workgroup_id_y 0
		.amdhsa_system_sgpr_workgroup_id_z 1
		.amdhsa_system_sgpr_workgroup_info 0
		.amdhsa_system_vgpr_workitem_id 0
		.amdhsa_next_free_vgpr 13
		.amdhsa_next_free_sgpr 31
		.amdhsa_reserve_vcc 1
		.amdhsa_reserve_flat_scratch 0
		.amdhsa_float_round_mode_32 0
		.amdhsa_float_round_mode_16_64 0
		.amdhsa_float_denorm_mode_32 3
		.amdhsa_float_denorm_mode_16_64 3
		.amdhsa_dx10_clamp 1
		.amdhsa_ieee_mode 1
		.amdhsa_fp16_overflow 0
		.amdhsa_workgroup_processor_mode 1
		.amdhsa_memory_ordered 1
		.amdhsa_forward_progress 1
		.amdhsa_shared_vgpr_count 0
		.amdhsa_exception_fp_ieee_invalid_op 0
		.amdhsa_exception_fp_denorm_src 0
		.amdhsa_exception_fp_ieee_div_zero 0
		.amdhsa_exception_fp_ieee_overflow 0
		.amdhsa_exception_fp_ieee_underflow 0
		.amdhsa_exception_fp_ieee_inexact 0
		.amdhsa_exception_int_div_zero 0
	.end_amdhsa_kernel
	.section	.text._ZL30rocblas_trtri_remainder_kernelILi16EdPKdPdEv13rocblas_fill_17rocblas_diagonal_iT1_lillT2_lilli,"axG",@progbits,_ZL30rocblas_trtri_remainder_kernelILi16EdPKdPdEv13rocblas_fill_17rocblas_diagonal_iT1_lillT2_lilli,comdat
.Lfunc_end7:
	.size	_ZL30rocblas_trtri_remainder_kernelILi16EdPKdPdEv13rocblas_fill_17rocblas_diagonal_iT1_lillT2_lilli, .Lfunc_end7-_ZL30rocblas_trtri_remainder_kernelILi16EdPKdPdEv13rocblas_fill_17rocblas_diagonal_iT1_lillT2_lilli
                                        ; -- End function
	.set _ZL30rocblas_trtri_remainder_kernelILi16EdPKdPdEv13rocblas_fill_17rocblas_diagonal_iT1_lillT2_lilli.num_vgpr, 13
	.set _ZL30rocblas_trtri_remainder_kernelILi16EdPKdPdEv13rocblas_fill_17rocblas_diagonal_iT1_lillT2_lilli.num_agpr, 0
	.set _ZL30rocblas_trtri_remainder_kernelILi16EdPKdPdEv13rocblas_fill_17rocblas_diagonal_iT1_lillT2_lilli.numbered_sgpr, 31
	.set _ZL30rocblas_trtri_remainder_kernelILi16EdPKdPdEv13rocblas_fill_17rocblas_diagonal_iT1_lillT2_lilli.num_named_barrier, 0
	.set _ZL30rocblas_trtri_remainder_kernelILi16EdPKdPdEv13rocblas_fill_17rocblas_diagonal_iT1_lillT2_lilli.private_seg_size, 0
	.set _ZL30rocblas_trtri_remainder_kernelILi16EdPKdPdEv13rocblas_fill_17rocblas_diagonal_iT1_lillT2_lilli.uses_vcc, 1
	.set _ZL30rocblas_trtri_remainder_kernelILi16EdPKdPdEv13rocblas_fill_17rocblas_diagonal_iT1_lillT2_lilli.uses_flat_scratch, 0
	.set _ZL30rocblas_trtri_remainder_kernelILi16EdPKdPdEv13rocblas_fill_17rocblas_diagonal_iT1_lillT2_lilli.has_dyn_sized_stack, 0
	.set _ZL30rocblas_trtri_remainder_kernelILi16EdPKdPdEv13rocblas_fill_17rocblas_diagonal_iT1_lillT2_lilli.has_recursion, 0
	.set _ZL30rocblas_trtri_remainder_kernelILi16EdPKdPdEv13rocblas_fill_17rocblas_diagonal_iT1_lillT2_lilli.has_indirect_call, 0
	.section	.AMDGPU.csdata,"",@progbits
; Kernel info:
; codeLenInByte = 1460
; TotalNumSgprs: 33
; NumVgprs: 13
; ScratchSize: 0
; MemoryBound: 0
; FloatMode: 240
; IeeeMode: 1
; LDSByteSize: 8192 bytes/workgroup (compile time only)
; SGPRBlocks: 0
; VGPRBlocks: 1
; NumSGPRsForWavesPerEU: 33
; NumVGPRsForWavesPerEU: 13
; Occupancy: 16
; WaveLimiterHint : 0
; COMPUTE_PGM_RSRC2:SCRATCH_EN: 0
; COMPUTE_PGM_RSRC2:USER_SGPR: 6
; COMPUTE_PGM_RSRC2:TRAP_HANDLER: 0
; COMPUTE_PGM_RSRC2:TGID_X_EN: 1
; COMPUTE_PGM_RSRC2:TGID_Y_EN: 0
; COMPUTE_PGM_RSRC2:TGID_Z_EN: 1
; COMPUTE_PGM_RSRC2:TIDIG_COMP_CNT: 0
	.section	.text._ZL18rocblas_trtri_fillILi128E19rocblas_complex_numIfEPS1_EvP15_rocblas_handle13rocblas_fill_ililT1_llii,"axG",@progbits,_ZL18rocblas_trtri_fillILi128E19rocblas_complex_numIfEPS1_EvP15_rocblas_handle13rocblas_fill_ililT1_llii,comdat
	.globl	_ZL18rocblas_trtri_fillILi128E19rocblas_complex_numIfEPS1_EvP15_rocblas_handle13rocblas_fill_ililT1_llii ; -- Begin function _ZL18rocblas_trtri_fillILi128E19rocblas_complex_numIfEPS1_EvP15_rocblas_handle13rocblas_fill_ililT1_llii
	.p2align	8
	.type	_ZL18rocblas_trtri_fillILi128E19rocblas_complex_numIfEPS1_EvP15_rocblas_handle13rocblas_fill_ililT1_llii,@function
_ZL18rocblas_trtri_fillILi128E19rocblas_complex_numIfEPS1_EvP15_rocblas_handle13rocblas_fill_ililT1_llii: ; @_ZL18rocblas_trtri_fillILi128E19rocblas_complex_numIfEPS1_EvP15_rocblas_handle13rocblas_fill_ililT1_llii
; %bb.0:
	s_clause 0x1
	s_load_dword s1, s[4:5], 0x40
	s_load_dwordx2 s[2:3], s[4:5], 0x10
	s_mov_b32 s0, s7
	s_mov_b32 s7, 0
	s_lshl_b64 s[8:9], s[6:7], 7
	v_or_b32_e32 v0, s8, v0
	v_mov_b32_e32 v1, s9
	s_waitcnt lgkmcnt(0)
	s_ashr_i32 s6, s1, 31
	s_mul_hi_u32 s8, s2, s1
	s_mul_i32 s6, s2, s6
	s_mul_i32 s9, s3, s1
	s_add_i32 s6, s8, s6
	s_mul_i32 s16, s2, s1
	s_add_i32 s17, s6, s9
	s_mov_b32 s1, exec_lo
	v_cmpx_gt_u64_e64 s[16:17], v[0:1]
	s_cbranch_execz .LBB8_16
; %bb.1:
	s_clause 0x2
	s_load_dwordx8 s[8:15], s[4:5], 0x20
	s_load_dword s18, s[4:5], 0x18
	s_load_dwordx2 s[20:21], s[4:5], 0x8
	v_cvt_f32_u32_e32 v2, s2
	v_cvt_f32_u32_e32 v3, s2
	;; [unrolled: 1-line block ×3, first 2 shown]
	s_clause 0x1
	s_load_dword s22, s[4:5], 0x48
	s_load_dword s23, s[4:5], 0x54
	v_rcp_iflag_f32_e32 v2, v2
	v_fmamk_f32 v3, v4, 0x4f800000, v3
	v_rcp_f32_e32 v3, v3
	v_mul_f32_e32 v2, 0x4f7ffffe, v2
	s_waitcnt lgkmcnt(0)
	s_mul_i32 s1, s15, s0
	s_mul_hi_u32 s4, s14, s0
	s_mul_i32 s0, s14, s0
	s_add_i32 s1, s4, s1
	s_ashr_i32 s19, s18, 31
	s_lshl_b64 s[0:1], s[0:1], 3
	v_cvt_u32_f32_e32 v5, v2
	s_add_u32 s0, s10, s0
	s_addc_u32 s6, s11, s1
	s_lshl_b64 s[4:5], s[12:13], 3
	v_mul_f32_e32 v4, 0x5f7ffffc, v3
	s_add_u32 s1, s0, s4
	s_addc_u32 s6, s6, s5
	s_add_i32 s0, s21, -1
	s_add_i32 s11, s21, -2
	s_mul_hi_i32 s5, s0, s21
	s_mul_i32 s4, s0, s21
	s_ashr_i32 s10, s21, 31
	s_lshl_b64 s[12:13], s[4:5], 2
	v_cvt_f64_i32_e32 v[2:3], s11
	s_add_u32 s11, s12, -7
	s_addc_u32 s12, s13, -1
	s_sub_i32 s0, 0, s2
	v_mul_f32_e32 v6, 0x2f800000, v4
	v_mul_lo_u32 v7, s0, v5
	s_and_b32 s0, s23, 0xffff
	s_mov_b32 s13, s21
	s_lshr_b64 s[4:5], s[4:5], 1
	v_trunc_f32_e32 v6, v6
	s_mul_hi_u32 s14, s0, s22
	s_mul_i32 s15, s0, s22
	v_mul_hi_u32 v7, v5, v7
	v_fmamk_f32 v8, v6, 0xcf800000, v4
	v_mov_b32_e32 v4, 0
	v_cvt_u32_f32_e32 v12, v6
	v_cvt_u32_f32_e32 v11, v8
	v_add_nc_u32_e32 v13, v5, v7
	s_branch .LBB8_3
.LBB8_2:                                ;   in Loop: Header=BB8_3 Depth=1
	v_add_co_u32 v0, vcc_lo, v0, s15
	v_add_co_ci_u32_e64 v1, null, s14, v1, vcc_lo
	v_cmp_le_u64_e32 vcc_lo, s[16:17], v[0:1]
	s_or_b32 s7, vcc_lo, s7
	s_andn2_b32 exec_lo, exec_lo, s7
	s_cbranch_execz .LBB8_16
.LBB8_3:                                ; =>This Inner Loop Header: Depth=1
	v_or_b32_e32 v5, s3, v1
	v_cmp_ne_u64_e32 vcc_lo, 0, v[4:5]
                                        ; implicit-def: $vgpr5_vgpr6
	s_and_saveexec_b32 s0, vcc_lo
	s_xor_b32 s21, exec_lo, s0
	s_cbranch_execz .LBB8_5
; %bb.4:                                ;   in Loop: Header=BB8_3 Depth=1
	v_readfirstlane_b32 s0, v11
	v_readfirstlane_b32 s22, v12
	s_sub_u32 s23, 0, s2
	s_subb_u32 s24, 0, s3
	s_mul_hi_u32 s25, s23, s0
	s_mul_i32 s26, s23, s22
	s_mul_i32 s27, s24, s0
	s_add_i32 s25, s25, s26
	s_mul_i32 s26, s23, s0
	s_add_i32 s25, s25, s27
	s_mul_hi_u32 s27, s0, s26
	s_mul_i32 s28, s0, s25
	s_mul_hi_u32 s29, s0, s25
	s_add_u32 s27, s27, s28
	s_mul_i32 s30, s22, s26
	s_addc_u32 s28, 0, s29
	s_mul_hi_u32 s26, s22, s26
	s_mul_hi_u32 s29, s22, s25
	s_add_u32 s27, s27, s30
	s_addc_u32 s26, s28, s26
	s_mul_i32 s25, s22, s25
	s_addc_u32 s27, s29, 0
	s_add_u32 s25, s26, s25
	s_addc_u32 s26, 0, s27
	s_add_u32 s0, s0, s25
	s_cselect_b32 s25, -1, 0
	s_mul_i32 s24, s24, s0
	s_cmp_lg_u32 s25, 0
	s_addc_u32 s22, s22, s26
	s_mul_hi_u32 s26, s23, s0
	s_mul_i32 s25, s23, s22
	s_mul_i32 s23, s23, s0
	s_add_i32 s25, s26, s25
	s_mul_hi_u32 s26, s22, s23
	s_add_i32 s25, s25, s24
	s_mul_i32 s27, s22, s23
	s_mul_i32 s28, s0, s25
	s_mul_hi_u32 s23, s0, s23
	s_mul_hi_u32 s29, s0, s25
	s_add_u32 s23, s23, s28
	s_addc_u32 s28, 0, s29
	s_mul_hi_u32 s24, s22, s25
	s_add_u32 s23, s23, s27
	s_addc_u32 s23, s28, s26
	s_mul_i32 s25, s22, s25
	s_addc_u32 s24, s24, 0
	s_add_u32 s23, s23, s25
	s_addc_u32 s24, 0, s24
	s_add_u32 s0, s0, s23
	s_cselect_b32 s23, -1, 0
	v_mul_hi_u32 v9, v0, s0
	s_cmp_lg_u32 s23, 0
	v_mad_u64_u32 v[7:8], null, v1, s0, 0
	s_addc_u32 s22, s22, s24
	v_mad_u64_u32 v[5:6], null, v0, s22, 0
	v_add_co_u32 v9, vcc_lo, v9, v5
	v_add_co_ci_u32_e64 v10, null, 0, v6, vcc_lo
	v_mad_u64_u32 v[5:6], null, v1, s22, 0
	v_add_co_u32 v7, vcc_lo, v9, v7
	v_add_co_ci_u32_e32 v7, vcc_lo, v10, v8, vcc_lo
	v_add_co_ci_u32_e32 v6, vcc_lo, 0, v6, vcc_lo
	v_add_co_u32 v7, vcc_lo, v7, v5
	v_add_co_ci_u32_e64 v8, null, 0, v6, vcc_lo
	v_mul_lo_u32 v9, s3, v7
	v_mad_u64_u32 v[5:6], null, s2, v7, 0
	v_mul_lo_u32 v10, s2, v8
	v_sub_co_u32 v5, vcc_lo, v0, v5
	v_add3_u32 v6, v6, v10, v9
	v_add_co_u32 v10, s0, v7, 2
	v_add_co_ci_u32_e64 v14, null, 0, v8, s0
	v_sub_nc_u32_e32 v9, v1, v6
	v_sub_co_u32 v15, s0, v5, s2
	v_sub_co_ci_u32_e64 v6, null, v1, v6, vcc_lo
	v_subrev_co_ci_u32_e64 v9, null, s3, v9, vcc_lo
	v_cmp_le_u32_e32 vcc_lo, s2, v15
	v_subrev_co_ci_u32_e64 v9, null, 0, v9, s0
	v_cndmask_b32_e64 v15, 0, -1, vcc_lo
	v_cmp_eq_u32_e64 s0, s3, v6
	v_cmp_le_u32_e32 vcc_lo, s3, v9
	v_cndmask_b32_e64 v16, 0, -1, vcc_lo
	v_cmp_le_u32_e32 vcc_lo, s2, v5
	v_cndmask_b32_e64 v5, 0, -1, vcc_lo
	;; [unrolled: 2-line block ×3, first 2 shown]
	v_cmp_eq_u32_e32 vcc_lo, s3, v9
	v_cndmask_b32_e64 v5, v17, v5, s0
	v_cndmask_b32_e32 v9, v16, v15, vcc_lo
	v_add_co_u32 v15, vcc_lo, v7, 1
	v_add_co_ci_u32_e64 v16, null, 0, v8, vcc_lo
	v_cmp_ne_u32_e32 vcc_lo, 0, v9
	v_cndmask_b32_e32 v6, v16, v14, vcc_lo
	v_cndmask_b32_e32 v9, v15, v10, vcc_lo
	v_cmp_ne_u32_e32 vcc_lo, 0, v5
	v_cndmask_b32_e32 v6, v8, v6, vcc_lo
	v_cndmask_b32_e32 v5, v7, v9, vcc_lo
.LBB8_5:                                ;   in Loop: Header=BB8_3 Depth=1
	s_andn2_saveexec_b32 s0, s21
	s_cbranch_execz .LBB8_7
; %bb.6:                                ;   in Loop: Header=BB8_3 Depth=1
	v_mul_hi_u32 v5, v0, v13
	v_mul_lo_u32 v6, v5, s2
	v_add_nc_u32_e32 v7, 1, v5
	v_sub_nc_u32_e32 v6, v0, v6
	v_subrev_nc_u32_e32 v8, s2, v6
	v_cmp_le_u32_e32 vcc_lo, s2, v6
	v_cndmask_b32_e32 v6, v6, v8, vcc_lo
	v_cndmask_b32_e32 v5, v5, v7, vcc_lo
	v_cmp_le_u32_e32 vcc_lo, s2, v6
	v_add_nc_u32_e32 v7, 1, v5
	v_mov_b32_e32 v6, v4
	v_cndmask_b32_e32 v5, v5, v7, vcc_lo
.LBB8_7:                                ;   in Loop: Header=BB8_3 Depth=1
	s_or_b32 exec_lo, exec_lo, s0
	v_mul_lo_u32 v9, v6, s2
	v_mul_lo_u32 v10, v5, s3
	v_mad_u64_u32 v[7:8], null, v5, s2, 0
	s_cmpk_lt_i32 s20, 0x7a
	v_add3_u32 v8, v8, v10, v9
	v_sub_co_u32 v7, vcc_lo, v0, v7
	v_sub_co_ci_u32_e64 v8, null, v1, v8, vcc_lo
	s_cbranch_scc1 .LBB8_10
; %bb.8:                                ;   in Loop: Header=BB8_3 Depth=1
	s_mov_b32 s0, 0
	s_cmpk_eq_i32 s20, 0x7a
	s_mov_b32 s21, 0
                                        ; implicit-def: $vgpr9_vgpr10
	s_cbranch_scc0 .LBB8_11
; %bb.9:                                ;   in Loop: Header=BB8_3 Depth=1
	v_lshlrev_b64 v[9:10], 3, v[7:8]
	s_mov_b32 s21, -1
	v_sub_co_u32 v14, vcc_lo, s11, v9
	v_sub_co_ci_u32_e64 v9, null, s12, v10, vcc_lo
	v_cvt_f64_u32_e32 v[14:15], v14
	v_cvt_f64_u32_e32 v[9:10], v9
	v_ldexp_f64 v[9:10], v[9:10], 32
	v_add_f64 v[9:10], v[9:10], v[14:15]
	v_cmp_gt_f64_e32 vcc_lo, 0x10000000, v[9:10]
	v_cndmask_b32_e64 v14, 0, 0x100, vcc_lo
	v_ldexp_f64 v[9:10], v[9:10], v14
	v_rsq_f64_e32 v[14:15], v[9:10]
	v_mul_f64 v[16:17], v[9:10], v[14:15]
	v_mul_f64 v[14:15], v[14:15], 0.5
	v_fma_f64 v[18:19], -v[14:15], v[16:17], 0.5
	v_fma_f64 v[16:17], v[16:17], v[18:19], v[16:17]
	v_fma_f64 v[14:15], v[14:15], v[18:19], v[14:15]
	v_fma_f64 v[18:19], -v[16:17], v[16:17], v[9:10]
	v_fma_f64 v[16:17], v[18:19], v[14:15], v[16:17]
	v_fma_f64 v[18:19], -v[16:17], v[16:17], v[9:10]
	v_fma_f64 v[14:15], v[18:19], v[14:15], v[16:17]
	v_cndmask_b32_e64 v16, 0, 0xffffff80, vcc_lo
	v_cmp_class_f64_e64 vcc_lo, v[9:10], 0x260
	v_mul_lo_u32 v17, v5, s9
	v_ldexp_f64 v[14:15], v[14:15], v16
	v_mul_lo_u32 v16, v6, s8
	v_cndmask_b32_e32 v10, v15, v10, vcc_lo
	v_cndmask_b32_e32 v9, v14, v9, vcc_lo
	v_fma_f64 v[9:10], v[9:10], 0.5, -0.5
	v_floor_f64_e32 v[9:10], v[9:10]
	v_add_f64 v[9:10], v[2:3], -v[9:10]
	v_trunc_f64_e32 v[9:10], v[9:10]
	v_ldexp_f64 v[14:15], v[9:10], 0xffffffe0
	v_floor_f64_e32 v[14:15], v[14:15]
	v_fma_f64 v[9:10], 0xc1f00000, v[14:15], v[9:10]
	v_cvt_u32_f64_e32 v15, v[14:15]
	v_cvt_u32_f64_e32 v14, v[9:10]
	v_mad_u64_u32 v[9:10], null, v5, s8, 0
	v_mul_lo_u32 v20, v15, s18
	v_add3_u32 v10, v10, v17, v16
	v_lshlrev_b64 v[9:10], 3, v[9:10]
	v_sub_co_u32 v21, vcc_lo, s13, v14
	v_sub_co_ci_u32_e64 v22, null, s10, v15, vcc_lo
	v_mul_lo_u32 v23, v14, s19
	v_mad_u64_u32 v[16:17], null, v14, s18, 0
	v_add_co_u32 v24, vcc_lo, v21, -1
	v_add_co_ci_u32_e64 v25, null, -1, v22, vcc_lo
	v_sub_co_u32 v18, vcc_lo, v7, s4
	v_add3_u32 v17, v17, v23, v20
	v_mul_lo_u32 v23, v25, v21
	v_mul_lo_u32 v22, v24, v22
	v_mad_u64_u32 v[20:21], null, v24, v21, 0
	v_subrev_co_ci_u32_e64 v19, null, s5, v8, vcc_lo
	v_lshlrev_b64 v[16:17], 3, v[16:17]
	v_add_co_u32 v9, vcc_lo, s1, v9
	v_add_co_ci_u32_e64 v10, null, s6, v10, vcc_lo
	v_lshlrev_b64 v[18:19], 3, v[18:19]
	v_add3_u32 v21, v21, v22, v23
	v_add_co_u32 v16, vcc_lo, v9, v16
	v_add_co_ci_u32_e64 v17, null, v10, v17, vcc_lo
	v_lshlrev_b64 v[9:10], 2, v[20:21]
	v_lshlrev_b64 v[14:15], 3, v[14:15]
	v_add_co_u32 v16, vcc_lo, v16, v18
	v_add_co_ci_u32_e64 v17, null, v17, v19, vcc_lo
	v_and_b32_e32 v9, -8, v9
	v_add_co_u32 v14, vcc_lo, v16, v14
	v_add_co_ci_u32_e64 v15, null, v17, v15, vcc_lo
	v_add_co_u32 v14, vcc_lo, v14, v9
	v_add_co_ci_u32_e64 v15, null, v15, v10, vcc_lo
	;; [unrolled: 2-line block ×3, first 2 shown]
	global_store_dword v[14:15], v4, off offset:8
	s_branch .LBB8_11
.LBB8_10:                               ;   in Loop: Header=BB8_3 Depth=1
	s_mov_b32 s0, -1
	s_mov_b32 s21, 0
                                        ; implicit-def: $vgpr9_vgpr10
.LBB8_11:                               ;   in Loop: Header=BB8_3 Depth=1
	s_and_b32 vcc_lo, exec_lo, s0
	s_cbranch_vccz .LBB8_14
; %bb.12:                               ;   in Loop: Header=BB8_3 Depth=1
	s_cmpk_eq_i32 s20, 0x79
                                        ; implicit-def: $vgpr9_vgpr10
	s_cbranch_scc0 .LBB8_14
; %bb.13:                               ;   in Loop: Header=BB8_3 Depth=1
	v_lshlrev_b64 v[9:10], 3, v[7:8]
	s_mov_b32 s21, -1
	v_cvt_f64_u32_e32 v[14:15], v10
	v_or_b32_e32 v9, 1, v9
	v_cvt_f64_u32_e32 v[9:10], v9
	v_ldexp_f64 v[14:15], v[14:15], 32
	v_add_f64 v[9:10], v[14:15], v[9:10]
	v_cmp_gt_f64_e32 vcc_lo, 0x10000000, v[9:10]
	v_cndmask_b32_e64 v14, 0, 0x100, vcc_lo
	v_ldexp_f64 v[9:10], v[9:10], v14
	v_rsq_f64_e32 v[14:15], v[9:10]
	v_mul_f64 v[16:17], v[9:10], v[14:15]
	v_mul_f64 v[14:15], v[14:15], 0.5
	v_fma_f64 v[18:19], -v[14:15], v[16:17], 0.5
	v_fma_f64 v[16:17], v[16:17], v[18:19], v[16:17]
	v_fma_f64 v[14:15], v[14:15], v[18:19], v[14:15]
	v_fma_f64 v[18:19], -v[16:17], v[16:17], v[9:10]
	v_fma_f64 v[16:17], v[18:19], v[14:15], v[16:17]
	v_fma_f64 v[18:19], -v[16:17], v[16:17], v[9:10]
	v_fma_f64 v[14:15], v[18:19], v[14:15], v[16:17]
	v_cndmask_b32_e64 v16, 0, 0xffffff80, vcc_lo
	v_cmp_class_f64_e64 vcc_lo, v[9:10], 0x260
	v_mul_lo_u32 v17, v5, s9
	v_ldexp_f64 v[14:15], v[14:15], v16
	v_mul_lo_u32 v16, v6, s8
	v_mad_u64_u32 v[5:6], null, v5, s8, 0
	v_add3_u32 v6, v6, v17, v16
	v_lshlrev_b64 v[5:6], 3, v[5:6]
	v_cndmask_b32_e32 v10, v15, v10, vcc_lo
	v_cndmask_b32_e32 v9, v14, v9, vcc_lo
	v_add_f64 v[9:10], v[9:10], -1.0
	v_mul_f64 v[9:10], v[9:10], 0.5
	v_trunc_f64_e32 v[9:10], v[9:10]
	v_ldexp_f64 v[14:15], v[9:10], 0xffffffe0
	v_floor_f64_e32 v[14:15], v[14:15]
	v_fma_f64 v[9:10], 0xc1f00000, v[14:15], v[9:10]
	v_cvt_u32_f64_e32 v15, v[14:15]
	v_cvt_u32_f64_e32 v14, v[9:10]
	v_mul_lo_u32 v19, s18, v15
	v_mad_u64_u32 v[9:10], null, v14, v14, v[14:15]
	v_mul_lo_u32 v18, v14, v15
	v_mul_lo_u32 v20, s19, v14
	v_mad_u64_u32 v[14:15], null, s18, v14, s[18:19]
	v_add3_u32 v10, v18, v10, v18
	v_add3_u32 v15, v20, v15, v19
	v_lshrrev_b64 v[9:10], 1, v[9:10]
	v_lshlrev_b64 v[14:15], 3, v[14:15]
	v_sub_co_u32 v7, vcc_lo, v7, v9
	v_sub_co_ci_u32_e64 v8, null, v8, v10, vcc_lo
	v_add_co_u32 v9, vcc_lo, s1, v5
	v_add_co_ci_u32_e64 v10, null, s6, v6, vcc_lo
	v_lshlrev_b64 v[5:6], 3, v[7:8]
	v_add_co_u32 v7, vcc_lo, v9, v14
	v_add_co_ci_u32_e64 v8, null, v10, v15, vcc_lo
	v_add_co_u32 v9, vcc_lo, v7, v5
	v_add_co_ci_u32_e64 v10, null, v8, v6, vcc_lo
	global_store_dword v[9:10], v4, off
.LBB8_14:                               ;   in Loop: Header=BB8_3 Depth=1
	s_and_b32 vcc_lo, exec_lo, s21
	s_cbranch_vccz .LBB8_2
; %bb.15:                               ;   in Loop: Header=BB8_3 Depth=1
	global_store_dword v[9:10], v4, off offset:4
	s_branch .LBB8_2
.LBB8_16:
	s_endpgm
	.section	.rodata,"a",@progbits
	.p2align	6, 0x0
	.amdhsa_kernel _ZL18rocblas_trtri_fillILi128E19rocblas_complex_numIfEPS1_EvP15_rocblas_handle13rocblas_fill_ililT1_llii
		.amdhsa_group_segment_fixed_size 0
		.amdhsa_private_segment_fixed_size 0
		.amdhsa_kernarg_size 328
		.amdhsa_user_sgpr_count 6
		.amdhsa_user_sgpr_private_segment_buffer 1
		.amdhsa_user_sgpr_dispatch_ptr 0
		.amdhsa_user_sgpr_queue_ptr 0
		.amdhsa_user_sgpr_kernarg_segment_ptr 1
		.amdhsa_user_sgpr_dispatch_id 0
		.amdhsa_user_sgpr_flat_scratch_init 0
		.amdhsa_user_sgpr_private_segment_size 0
		.amdhsa_wavefront_size32 1
		.amdhsa_uses_dynamic_stack 0
		.amdhsa_system_sgpr_private_segment_wavefront_offset 0
		.amdhsa_system_sgpr_workgroup_id_x 1
		.amdhsa_system_sgpr_workgroup_id_y 0
		.amdhsa_system_sgpr_workgroup_id_z 1
		.amdhsa_system_sgpr_workgroup_info 0
		.amdhsa_system_vgpr_workitem_id 0
		.amdhsa_next_free_vgpr 26
		.amdhsa_next_free_sgpr 31
		.amdhsa_reserve_vcc 1
		.amdhsa_reserve_flat_scratch 0
		.amdhsa_float_round_mode_32 0
		.amdhsa_float_round_mode_16_64 0
		.amdhsa_float_denorm_mode_32 3
		.amdhsa_float_denorm_mode_16_64 3
		.amdhsa_dx10_clamp 1
		.amdhsa_ieee_mode 1
		.amdhsa_fp16_overflow 0
		.amdhsa_workgroup_processor_mode 1
		.amdhsa_memory_ordered 1
		.amdhsa_forward_progress 1
		.amdhsa_shared_vgpr_count 0
		.amdhsa_exception_fp_ieee_invalid_op 0
		.amdhsa_exception_fp_denorm_src 0
		.amdhsa_exception_fp_ieee_div_zero 0
		.amdhsa_exception_fp_ieee_overflow 0
		.amdhsa_exception_fp_ieee_underflow 0
		.amdhsa_exception_fp_ieee_inexact 0
		.amdhsa_exception_int_div_zero 0
	.end_amdhsa_kernel
	.section	.text._ZL18rocblas_trtri_fillILi128E19rocblas_complex_numIfEPS1_EvP15_rocblas_handle13rocblas_fill_ililT1_llii,"axG",@progbits,_ZL18rocblas_trtri_fillILi128E19rocblas_complex_numIfEPS1_EvP15_rocblas_handle13rocblas_fill_ililT1_llii,comdat
.Lfunc_end8:
	.size	_ZL18rocblas_trtri_fillILi128E19rocblas_complex_numIfEPS1_EvP15_rocblas_handle13rocblas_fill_ililT1_llii, .Lfunc_end8-_ZL18rocblas_trtri_fillILi128E19rocblas_complex_numIfEPS1_EvP15_rocblas_handle13rocblas_fill_ililT1_llii
                                        ; -- End function
	.set _ZL18rocblas_trtri_fillILi128E19rocblas_complex_numIfEPS1_EvP15_rocblas_handle13rocblas_fill_ililT1_llii.num_vgpr, 26
	.set _ZL18rocblas_trtri_fillILi128E19rocblas_complex_numIfEPS1_EvP15_rocblas_handle13rocblas_fill_ililT1_llii.num_agpr, 0
	.set _ZL18rocblas_trtri_fillILi128E19rocblas_complex_numIfEPS1_EvP15_rocblas_handle13rocblas_fill_ililT1_llii.numbered_sgpr, 31
	.set _ZL18rocblas_trtri_fillILi128E19rocblas_complex_numIfEPS1_EvP15_rocblas_handle13rocblas_fill_ililT1_llii.num_named_barrier, 0
	.set _ZL18rocblas_trtri_fillILi128E19rocblas_complex_numIfEPS1_EvP15_rocblas_handle13rocblas_fill_ililT1_llii.private_seg_size, 0
	.set _ZL18rocblas_trtri_fillILi128E19rocblas_complex_numIfEPS1_EvP15_rocblas_handle13rocblas_fill_ililT1_llii.uses_vcc, 1
	.set _ZL18rocblas_trtri_fillILi128E19rocblas_complex_numIfEPS1_EvP15_rocblas_handle13rocblas_fill_ililT1_llii.uses_flat_scratch, 0
	.set _ZL18rocblas_trtri_fillILi128E19rocblas_complex_numIfEPS1_EvP15_rocblas_handle13rocblas_fill_ililT1_llii.has_dyn_sized_stack, 0
	.set _ZL18rocblas_trtri_fillILi128E19rocblas_complex_numIfEPS1_EvP15_rocblas_handle13rocblas_fill_ililT1_llii.has_recursion, 0
	.set _ZL18rocblas_trtri_fillILi128E19rocblas_complex_numIfEPS1_EvP15_rocblas_handle13rocblas_fill_ililT1_llii.has_indirect_call, 0
	.section	.AMDGPU.csdata,"",@progbits
; Kernel info:
; codeLenInByte = 2068
; TotalNumSgprs: 33
; NumVgprs: 26
; ScratchSize: 0
; MemoryBound: 0
; FloatMode: 240
; IeeeMode: 1
; LDSByteSize: 0 bytes/workgroup (compile time only)
; SGPRBlocks: 0
; VGPRBlocks: 3
; NumSGPRsForWavesPerEU: 33
; NumVGPRsForWavesPerEU: 26
; Occupancy: 16
; WaveLimiterHint : 0
; COMPUTE_PGM_RSRC2:SCRATCH_EN: 0
; COMPUTE_PGM_RSRC2:USER_SGPR: 6
; COMPUTE_PGM_RSRC2:TRAP_HANDLER: 0
; COMPUTE_PGM_RSRC2:TGID_X_EN: 1
; COMPUTE_PGM_RSRC2:TGID_Y_EN: 0
; COMPUTE_PGM_RSRC2:TGID_Z_EN: 1
; COMPUTE_PGM_RSRC2:TIDIG_COMP_CNT: 0
	.section	.text._ZL26rocblas_trtri_small_kernelILi16E19rocblas_complex_numIfEPKS1_PS1_Ev13rocblas_fill_17rocblas_diagonal_iT1_lillT2_lilli,"axG",@progbits,_ZL26rocblas_trtri_small_kernelILi16E19rocblas_complex_numIfEPKS1_PS1_Ev13rocblas_fill_17rocblas_diagonal_iT1_lillT2_lilli,comdat
	.globl	_ZL26rocblas_trtri_small_kernelILi16E19rocblas_complex_numIfEPKS1_PS1_Ev13rocblas_fill_17rocblas_diagonal_iT1_lillT2_lilli ; -- Begin function _ZL26rocblas_trtri_small_kernelILi16E19rocblas_complex_numIfEPKS1_PS1_Ev13rocblas_fill_17rocblas_diagonal_iT1_lillT2_lilli
	.p2align	8
	.type	_ZL26rocblas_trtri_small_kernelILi16E19rocblas_complex_numIfEPKS1_PS1_Ev13rocblas_fill_17rocblas_diagonal_iT1_lillT2_lilli,@function
_ZL26rocblas_trtri_small_kernelILi16E19rocblas_complex_numIfEPKS1_PS1_Ev13rocblas_fill_17rocblas_diagonal_iT1_lillT2_lilli: ; @_ZL26rocblas_trtri_small_kernelILi16E19rocblas_complex_numIfEPKS1_PS1_Ev13rocblas_fill_17rocblas_diagonal_iT1_lillT2_lilli
; %bb.0:
	s_load_dwordx4 s[16:19], s[4:5], 0x0
	s_waitcnt lgkmcnt(0)
	s_cmp_lt_i32 s18, 1
	s_cbranch_scc1 .LBB9_43
; %bb.1:
	s_load_dwordx8 s[8:15], s[4:5], 0x28
	v_cmp_le_u32_e64 s1, s18, v0
	v_cmp_gt_u32_e64 s0, s18, v0
	s_and_saveexec_b32 s3, s0
	s_cbranch_execz .LBB9_9
; %bb.2:
	s_clause 0x1
	s_load_dwordx4 s[20:23], s[4:5], 0x10
	s_load_dword s24, s[4:5], 0x20
	s_waitcnt lgkmcnt(0)
	s_mul_i32 s2, s9, s7
	s_mul_hi_u32 s9, s8, s7
	s_mul_i32 s8, s8, s7
	s_add_i32 s9, s9, s2
	s_mul_i32 s2, s11, s6
	s_mul_hi_u32 s11, s10, s6
	s_mul_i32 s10, s10, s6
	s_add_i32 s11, s11, s2
	s_cmpk_lg_i32 s16, 0x7a
	s_mov_b32 s2, -1
	s_cbranch_scc0 .LBB9_6
; %bb.3:
	s_add_i32 s2, s18, -1
	s_ashr_i32 s25, s24, 31
	s_lshl_b64 s[26:27], s[10:11], 3
	s_lshl_b64 s[28:29], s[8:9], 3
	s_lshl_b32 s19, s18, 3
	s_add_u32 s28, s26, s28
	s_mul_i32 s26, s25, s2
	s_mul_hi_u32 s30, s24, s2
	s_addc_u32 s29, s27, s29
	s_add_i32 s27, s30, s26
	s_mul_i32 s26, s24, s2
	v_sub_nc_u32_e32 v1, s2, v0
	s_lshl_b64 s[26:27], s[26:27], 3
	s_add_u32 s2, s28, s26
	s_addc_u32 s28, s29, s27
	s_lshl_b64 s[26:27], s[22:23], 3
	v_lshlrev_b32_e32 v3, 3, v1
	v_lshlrev_b32_e32 v1, 3, v0
	s_add_u32 s2, s2, s26
	s_addc_u32 s26, s28, s27
	s_add_u32 s2, s20, s2
	s_addc_u32 s28, s21, s26
	v_add_co_u32 v1, s2, s2, v1
	s_lshl_b64 s[26:27], s[24:25], 3
	v_add_co_ci_u32_e64 v2, null, s28, 0, s2
	s_sub_u32 s25, 0, s26
	s_subb_u32 s27, 0, s27
	s_mov_b32 s26, 0
	s_mov_b32 s28, s18
.LBB9_4:                                ; =>This Inner Loop Header: Depth=1
	global_load_dwordx2 v[4:5], v[1:2], off
	s_add_i32 s28, s28, -1
	v_add_co_u32 v1, vcc_lo, v1, s25
	v_cmp_le_u32_e64 s2, s28, v0
	v_add_co_ci_u32_e64 v2, null, s27, v2, vcc_lo
	s_or_b32 s26, s2, s26
	s_waitcnt vmcnt(0)
	ds_write_b64 v3, v[4:5]
	v_add_nc_u32_e32 v3, s19, v3
	s_andn2_b32 exec_lo, exec_lo, s26
	s_cbranch_execnz .LBB9_4
; %bb.5:
	s_or_b32 exec_lo, exec_lo, s26
	s_mov_b32 s2, 0
.LBB9_6:
	s_and_b32 vcc_lo, exec_lo, s2
	s_cbranch_vccz .LBB9_9
; %bb.7:
	s_lshl_b64 s[8:9], s[8:9], 3
	v_lshlrev_b32_e32 v3, 3, v0
	s_add_u32 s2, s20, s8
	s_addc_u32 s19, s21, s9
	s_lshl_b64 s[8:9], s[22:23], 3
	v_add_nc_u32_e32 v4, 1, v0
	s_add_u32 s2, s2, s8
	s_addc_u32 s19, s19, s9
	s_lshl_b64 s[8:9], s[10:11], 3
	s_mov_b32 s11, 0
	s_add_u32 s2, s2, s8
	s_addc_u32 s8, s19, s9
	v_add_co_u32 v1, s2, s2, v3
	v_add_co_ci_u32_e64 v2, null, s8, 0, s2
	s_ashr_i32 s25, s24, 31
	s_lshl_b32 s10, s18, 3
	s_lshl_b64 s[8:9], s[24:25], 3
.LBB9_8:                                ; =>This Inner Loop Header: Depth=1
	global_load_dwordx2 v[5:6], v[1:2], off
	v_add_nc_u32_e32 v4, -1, v4
	v_add_co_u32 v1, vcc_lo, v1, s8
	v_add_co_ci_u32_e64 v2, null, s9, v2, vcc_lo
	v_cmp_eq_u32_e64 s2, 0, v4
	s_or_b32 s11, s2, s11
	s_waitcnt vmcnt(0)
	ds_write_b64 v3, v[5:6]
	v_add_nc_u32_e32 v3, s10, v3
	s_andn2_b32 exec_lo, exec_lo, s11
	s_cbranch_execnz .LBB9_8
.LBB9_9:
	s_or_b32 exec_lo, exec_lo, s3
	s_waitcnt lgkmcnt(0)
	; wave barrier
	buffer_gl0_inv
                                        ; implicit-def: $vgpr1
	s_and_saveexec_b32 s2, s1
	s_xor_b32 s1, exec_lo, s2
; %bb.10:
	v_mad_u64_u32 v[1:2], null, v0, s18, v[0:1]
; %bb.11:
	s_andn2_saveexec_b32 s2, s1
	s_cbranch_execz .LBB9_24
; %bb.12:
	v_mad_u64_u32 v[1:2], null, v0, s18, v[0:1]
	s_cmpk_lg_i32 s17, 0x84
	s_mov_b32 s1, -1
	v_lshlrev_b32_e32 v6, 3, v1
	s_cbranch_scc0 .LBB9_22
; %bb.13:
	ds_read_b64 v[2:3], v6
	s_waitcnt lgkmcnt(0)
	v_cmp_neq_f32_e32 vcc_lo, 0, v2
	v_cmp_neq_f32_e64 s1, 0, v3
	s_or_b32 s1, vcc_lo, s1
	s_and_saveexec_b32 s3, s1
	s_xor_b32 s1, exec_lo, s3
	s_cbranch_execz .LBB9_19
; %bb.14:
	v_cmp_ngt_f32_e64 s3, |v2|, |v3|
                                        ; implicit-def: $vgpr4
	s_and_saveexec_b32 s8, s3
	s_xor_b32 s3, exec_lo, s8
	s_cbranch_execz .LBB9_16
; %bb.15:
	v_div_scale_f32 v4, null, v3, v3, v2
	v_div_scale_f32 v8, vcc_lo, v2, v3, v2
	v_rcp_f32_e32 v5, v4
	v_fma_f32 v7, -v4, v5, 1.0
	v_fmac_f32_e32 v5, v7, v5
	v_mul_f32_e32 v7, v8, v5
	v_fma_f32 v9, -v4, v7, v8
	v_fmac_f32_e32 v7, v9, v5
	v_fma_f32 v4, -v4, v7, v8
	v_div_fmas_f32 v4, v4, v5, v7
	v_div_fixup_f32 v4, v4, v3, v2
	v_fmac_f32_e32 v3, v2, v4
	v_div_scale_f32 v2, null, v3, v3, 1.0
	v_div_scale_f32 v8, vcc_lo, 1.0, v3, 1.0
	v_rcp_f32_e32 v5, v2
	v_fma_f32 v7, -v2, v5, 1.0
	v_fmac_f32_e32 v5, v7, v5
	v_mul_f32_e32 v7, v8, v5
	v_fma_f32 v9, -v2, v7, v8
	v_fmac_f32_e32 v7, v9, v5
	v_fma_f32 v2, -v2, v7, v8
	v_div_fmas_f32 v2, v2, v5, v7
	v_div_fixup_f32 v2, v2, v3, 1.0
	v_mul_f32_e32 v4, v4, v2
	v_xor_b32_e32 v5, 0x80000000, v2
                                        ; implicit-def: $vgpr2_vgpr3
.LBB9_16:
	s_andn2_saveexec_b32 s3, s3
	s_cbranch_execz .LBB9_18
; %bb.17:
	v_div_scale_f32 v4, null, v2, v2, v3
	v_div_scale_f32 v8, vcc_lo, v3, v2, v3
	v_rcp_f32_e32 v5, v4
	v_fma_f32 v7, -v4, v5, 1.0
	v_fmac_f32_e32 v5, v7, v5
	v_mul_f32_e32 v7, v8, v5
	v_fma_f32 v9, -v4, v7, v8
	v_fmac_f32_e32 v7, v9, v5
	v_fma_f32 v4, -v4, v7, v8
	v_div_fmas_f32 v4, v4, v5, v7
	v_div_fixup_f32 v5, v4, v2, v3
	v_fmac_f32_e32 v2, v3, v5
	v_div_scale_f32 v3, null, v2, v2, 1.0
	v_rcp_f32_e32 v4, v3
	v_fma_f32 v7, -v3, v4, 1.0
	v_fmac_f32_e32 v4, v7, v4
	v_div_scale_f32 v7, vcc_lo, 1.0, v2, 1.0
	v_mul_f32_e32 v8, v7, v4
	v_fma_f32 v9, -v3, v8, v7
	v_fmac_f32_e32 v8, v9, v4
	v_fma_f32 v3, -v3, v8, v7
	v_div_fmas_f32 v3, v3, v4, v8
	v_div_fixup_f32 v4, v3, v2, 1.0
	v_mul_f32_e64 v5, v5, -v4
.LBB9_18:
	s_or_b32 exec_lo, exec_lo, s3
	ds_write_b64 v6, v[4:5]
.LBB9_19:
	s_andn2_saveexec_b32 s1, s1
; %bb.20:
	v_mov_b32_e32 v2, 1.0
	v_mov_b32_e32 v3, 0
	ds_write_b64 v6, v[2:3]
; %bb.21:
	s_or_b32 exec_lo, exec_lo, s1
	s_mov_b32 s1, 0
.LBB9_22:
	s_andn2_b32 vcc_lo, exec_lo, s1
	s_cbranch_vccnz .LBB9_24
; %bb.23:
	v_mov_b32_e32 v2, 1.0
	v_mov_b32_e32 v3, 0
	ds_write_b64 v6, v[2:3]
.LBB9_24:
	s_or_b32 exec_lo, exec_lo, s2
	v_lshlrev_b32_e32 v3, 3, v0
	s_lshl_b32 s1, s18, 3
	v_lshlrev_b32_e32 v1, 3, v1
	s_mov_b32 s2, 8
	s_add_i32 s3, s1, 8
	v_add_nc_u32_e32 v2, s1, v3
	s_mov_b32 s8, 0
	s_waitcnt lgkmcnt(0)
	; wave barrier
	buffer_gl0_inv
	s_branch .LBB9_26
.LBB9_25:                               ;   in Loop: Header=BB9_26 Depth=1
	s_inst_prefetch 0x2
	v_add_nc_u32_e32 v2, s1, v2
	s_add_i32 s2, s2, s3
	s_cmp_eq_u32 s8, s18
	; wave barrier
	buffer_gl0_inv
	s_cbranch_scc1 .LBB9_35
.LBB9_26:                               ; =>This Loop Header: Depth=1
                                        ;     Child Loop BB9_31 Depth 2
	v_mov_b32_e32 v4, 0
	v_mov_b32_e32 v5, 0
	s_mul_i32 s9, s8, s18
	s_mov_b32 s10, exec_lo
	v_cmpx_lt_u32_e64 s8, v0
	s_cbranch_execz .LBB9_28
; %bb.27:                               ;   in Loop: Header=BB9_26 Depth=1
	s_lshl_b32 s11, s9, 3
	s_lshl_b32 s17, s8, 3
	v_add_nc_u32_e32 v4, s11, v3
	s_add_i32 s17, s17, s11
	v_mov_b32_e32 v6, s17
	ds_read_b64 v[4:5], v4
	ds_read_b64 v[6:7], v6
	s_waitcnt lgkmcnt(0)
	v_mul_f32_e32 v8, v7, v5
	v_mul_f32_e32 v5, v6, v5
	v_fma_f32 v6, v6, v4, -v8
	v_fmac_f32_e32 v5, v7, v4
	v_add_f32_e32 v4, 0, v6
	v_add_f32_e32 v5, 0, v5
.LBB9_28:                               ;   in Loop: Header=BB9_26 Depth=1
	s_or_b32 exec_lo, exec_lo, s10
	s_add_i32 s8, s8, 1
	s_cmp_ge_i32 s8, s18
	; wave barrier
	buffer_gl0_inv
	s_cbranch_scc1 .LBB9_25
; %bb.29:                               ;   in Loop: Header=BB9_26 Depth=1
	v_lshl_add_u32 v6, s9, 3, v3
	v_mov_b32_e32 v7, v2
	s_mov_b32 s9, s2
	s_mov_b32 s10, s8
	s_inst_prefetch 0x1
	s_branch .LBB9_31
	.p2align	6
.LBB9_30:                               ;   in Loop: Header=BB9_31 Depth=2
	s_or_b32 exec_lo, exec_lo, s11
	v_add_nc_u32_e32 v7, s1, v7
	s_add_i32 s10, s10, 1
	s_add_i32 s9, s9, 8
	s_cmp_eq_u32 s18, s10
	; wave barrier
	buffer_gl0_inv
	s_cbranch_scc1 .LBB9_25
.LBB9_31:                               ;   Parent Loop BB9_26 Depth=1
                                        ; =>  This Inner Loop Header: Depth=2
	s_mov_b32 s11, exec_lo
	v_cmpx_eq_u32_e64 s10, v0
	s_cbranch_execz .LBB9_33
; %bb.32:                               ;   in Loop: Header=BB9_31 Depth=2
	ds_read_b64 v[8:9], v1
	v_sub_f32_e32 v11, 0, v4
	s_waitcnt lgkmcnt(0)
	v_mul_f32_e32 v10, v5, v9
	v_mul_f32_e32 v12, v5, v8
	v_fmac_f32_e32 v10, v11, v8
	v_fma_f32 v11, -v4, v9, -v12
	ds_write_b64 v6, v[10:11]
.LBB9_33:                               ;   in Loop: Header=BB9_31 Depth=2
	s_or_b32 exec_lo, exec_lo, s11
	s_mov_b32 s11, exec_lo
	s_waitcnt lgkmcnt(0)
	; wave barrier
	buffer_gl0_inv
	v_cmpx_lt_u32_e64 s10, v0
	s_cbranch_execz .LBB9_30
; %bb.34:                               ;   in Loop: Header=BB9_31 Depth=2
	v_mov_b32_e32 v10, s9
	ds_read_b64 v[8:9], v7
	ds_read_b64 v[10:11], v10
	s_waitcnt lgkmcnt(0)
	v_mul_f32_e32 v12, v11, v9
	v_mul_f32_e32 v9, v10, v9
	v_fma_f32 v10, v10, v8, -v12
	v_fmac_f32_e32 v9, v11, v8
	v_add_f32_e32 v4, v4, v10
	v_add_f32_e32 v5, v5, v9
	s_branch .LBB9_30
.LBB9_35:
	s_and_saveexec_b32 s2, s0
	s_cbranch_execz .LBB9_43
; %bb.36:
	s_clause 0x1
	s_load_dwordx4 s[8:11], s[4:5], 0x50
	s_load_dword s2, s[4:5], 0x48
	s_waitcnt lgkmcnt(0)
	s_mul_i32 s0, s9, s7
	s_mul_hi_u32 s3, s8, s7
	s_mul_i32 s4, s8, s7
	s_mul_i32 s7, s11, s6
	s_mul_hi_u32 s8, s10, s6
	s_add_i32 s5, s3, s0
	s_add_i32 s7, s8, s7
	s_mul_i32 s6, s10, s6
	s_cmpk_lg_i32 s16, 0x7a
	s_mov_b32 s0, -1
	s_cbranch_scc0 .LBB9_40
; %bb.37:
	s_add_i32 s0, s18, -1
	s_lshl_b64 s[8:9], s[6:7], 3
	s_lshl_b64 s[10:11], s[4:5], 3
	s_ashr_i32 s3, s2, 31
	s_add_u32 s10, s8, s10
	s_mul_i32 s8, s3, s0
	s_mul_hi_u32 s16, s2, s0
	s_addc_u32 s11, s9, s11
	s_add_i32 s9, s16, s8
	s_mul_i32 s8, s2, s0
	v_sub_nc_u32_e32 v1, s0, v0
	s_lshl_b64 s[8:9], s[8:9], 3
	s_add_u32 s0, s10, s8
	s_addc_u32 s10, s11, s9
	s_lshl_b64 s[8:9], s[14:15], 3
	v_lshlrev_b32_e32 v4, 3, v1
	v_lshlrev_b32_e32 v1, 3, v0
	s_add_u32 s0, s0, s8
	s_addc_u32 s8, s10, s9
	s_add_u32 s0, s12, s0
	s_addc_u32 s10, s13, s8
	v_add_co_u32 v1, s0, s0, v1
	s_lshl_b64 s[8:9], s[2:3], 3
	v_add_co_ci_u32_e64 v2, null, s10, 0, s0
	s_sub_u32 s3, 0, s8
	s_subb_u32 s9, 0, s9
	s_mov_b32 s8, 0
.LBB9_38:                               ; =>This Inner Loop Header: Depth=1
	ds_read_b64 v[5:6], v4
	s_add_i32 s18, s18, -1
	v_add_nc_u32_e32 v4, s1, v4
	v_cmp_le_u32_e32 vcc_lo, s18, v0
	s_or_b32 s8, vcc_lo, s8
	s_waitcnt lgkmcnt(0)
	global_store_dwordx2 v[1:2], v[5:6], off
	v_add_co_u32 v1, s0, v1, s3
	v_add_co_ci_u32_e64 v2, null, s9, v2, s0
	s_andn2_b32 exec_lo, exec_lo, s8
	s_cbranch_execnz .LBB9_38
; %bb.39:
	s_or_b32 exec_lo, exec_lo, s8
	s_mov_b32 s0, 0
.LBB9_40:
	s_and_b32 vcc_lo, exec_lo, s0
	s_cbranch_vccz .LBB9_43
; %bb.41:
	s_lshl_b64 s[4:5], s[4:5], 3
	v_lshlrev_b32_e32 v1, 3, v0
	s_add_u32 s0, s12, s4
	s_addc_u32 s3, s13, s5
	s_lshl_b64 s[4:5], s[14:15], 3
	v_add_nc_u32_e32 v0, 1, v0
	s_add_u32 s0, s0, s4
	s_addc_u32 s3, s3, s5
	s_lshl_b64 s[4:5], s[6:7], 3
	s_add_u32 s0, s0, s4
	s_addc_u32 s4, s3, s5
	v_add_co_u32 v1, s0, s0, v1
	v_add_co_ci_u32_e64 v2, null, s4, 0, s0
	s_ashr_i32 s3, s2, 31
	s_mov_b32 s4, 0
	s_lshl_b64 s[2:3], s[2:3], 3
.LBB9_42:                               ; =>This Inner Loop Header: Depth=1
	ds_read_b64 v[4:5], v3
	v_add_nc_u32_e32 v0, -1, v0
	v_add_nc_u32_e32 v3, s1, v3
	v_cmp_eq_u32_e32 vcc_lo, 0, v0
	s_or_b32 s4, vcc_lo, s4
	s_waitcnt lgkmcnt(0)
	global_store_dwordx2 v[1:2], v[4:5], off
	v_add_co_u32 v1, s0, v1, s2
	v_add_co_ci_u32_e64 v2, null, s3, v2, s0
	s_andn2_b32 exec_lo, exec_lo, s4
	s_cbranch_execnz .LBB9_42
.LBB9_43:
	s_endpgm
	.section	.rodata,"a",@progbits
	.p2align	6, 0x0
	.amdhsa_kernel _ZL26rocblas_trtri_small_kernelILi16E19rocblas_complex_numIfEPKS1_PS1_Ev13rocblas_fill_17rocblas_diagonal_iT1_lillT2_lilli
		.amdhsa_group_segment_fixed_size 2048
		.amdhsa_private_segment_fixed_size 0
		.amdhsa_kernarg_size 100
		.amdhsa_user_sgpr_count 6
		.amdhsa_user_sgpr_private_segment_buffer 1
		.amdhsa_user_sgpr_dispatch_ptr 0
		.amdhsa_user_sgpr_queue_ptr 0
		.amdhsa_user_sgpr_kernarg_segment_ptr 1
		.amdhsa_user_sgpr_dispatch_id 0
		.amdhsa_user_sgpr_flat_scratch_init 0
		.amdhsa_user_sgpr_private_segment_size 0
		.amdhsa_wavefront_size32 1
		.amdhsa_uses_dynamic_stack 0
		.amdhsa_system_sgpr_private_segment_wavefront_offset 0
		.amdhsa_system_sgpr_workgroup_id_x 1
		.amdhsa_system_sgpr_workgroup_id_y 0
		.amdhsa_system_sgpr_workgroup_id_z 1
		.amdhsa_system_sgpr_workgroup_info 0
		.amdhsa_system_vgpr_workitem_id 0
		.amdhsa_next_free_vgpr 13
		.amdhsa_next_free_sgpr 31
		.amdhsa_reserve_vcc 1
		.amdhsa_reserve_flat_scratch 0
		.amdhsa_float_round_mode_32 0
		.amdhsa_float_round_mode_16_64 0
		.amdhsa_float_denorm_mode_32 3
		.amdhsa_float_denorm_mode_16_64 3
		.amdhsa_dx10_clamp 1
		.amdhsa_ieee_mode 1
		.amdhsa_fp16_overflow 0
		.amdhsa_workgroup_processor_mode 1
		.amdhsa_memory_ordered 1
		.amdhsa_forward_progress 1
		.amdhsa_shared_vgpr_count 0
		.amdhsa_exception_fp_ieee_invalid_op 0
		.amdhsa_exception_fp_denorm_src 0
		.amdhsa_exception_fp_ieee_div_zero 0
		.amdhsa_exception_fp_ieee_overflow 0
		.amdhsa_exception_fp_ieee_underflow 0
		.amdhsa_exception_fp_ieee_inexact 0
		.amdhsa_exception_int_div_zero 0
	.end_amdhsa_kernel
	.section	.text._ZL26rocblas_trtri_small_kernelILi16E19rocblas_complex_numIfEPKS1_PS1_Ev13rocblas_fill_17rocblas_diagonal_iT1_lillT2_lilli,"axG",@progbits,_ZL26rocblas_trtri_small_kernelILi16E19rocblas_complex_numIfEPKS1_PS1_Ev13rocblas_fill_17rocblas_diagonal_iT1_lillT2_lilli,comdat
.Lfunc_end9:
	.size	_ZL26rocblas_trtri_small_kernelILi16E19rocblas_complex_numIfEPKS1_PS1_Ev13rocblas_fill_17rocblas_diagonal_iT1_lillT2_lilli, .Lfunc_end9-_ZL26rocblas_trtri_small_kernelILi16E19rocblas_complex_numIfEPKS1_PS1_Ev13rocblas_fill_17rocblas_diagonal_iT1_lillT2_lilli
                                        ; -- End function
	.set _ZL26rocblas_trtri_small_kernelILi16E19rocblas_complex_numIfEPKS1_PS1_Ev13rocblas_fill_17rocblas_diagonal_iT1_lillT2_lilli.num_vgpr, 13
	.set _ZL26rocblas_trtri_small_kernelILi16E19rocblas_complex_numIfEPKS1_PS1_Ev13rocblas_fill_17rocblas_diagonal_iT1_lillT2_lilli.num_agpr, 0
	.set _ZL26rocblas_trtri_small_kernelILi16E19rocblas_complex_numIfEPKS1_PS1_Ev13rocblas_fill_17rocblas_diagonal_iT1_lillT2_lilli.numbered_sgpr, 31
	.set _ZL26rocblas_trtri_small_kernelILi16E19rocblas_complex_numIfEPKS1_PS1_Ev13rocblas_fill_17rocblas_diagonal_iT1_lillT2_lilli.num_named_barrier, 0
	.set _ZL26rocblas_trtri_small_kernelILi16E19rocblas_complex_numIfEPKS1_PS1_Ev13rocblas_fill_17rocblas_diagonal_iT1_lillT2_lilli.private_seg_size, 0
	.set _ZL26rocblas_trtri_small_kernelILi16E19rocblas_complex_numIfEPKS1_PS1_Ev13rocblas_fill_17rocblas_diagonal_iT1_lillT2_lilli.uses_vcc, 1
	.set _ZL26rocblas_trtri_small_kernelILi16E19rocblas_complex_numIfEPKS1_PS1_Ev13rocblas_fill_17rocblas_diagonal_iT1_lillT2_lilli.uses_flat_scratch, 0
	.set _ZL26rocblas_trtri_small_kernelILi16E19rocblas_complex_numIfEPKS1_PS1_Ev13rocblas_fill_17rocblas_diagonal_iT1_lillT2_lilli.has_dyn_sized_stack, 0
	.set _ZL26rocblas_trtri_small_kernelILi16E19rocblas_complex_numIfEPKS1_PS1_Ev13rocblas_fill_17rocblas_diagonal_iT1_lillT2_lilli.has_recursion, 0
	.set _ZL26rocblas_trtri_small_kernelILi16E19rocblas_complex_numIfEPKS1_PS1_Ev13rocblas_fill_17rocblas_diagonal_iT1_lillT2_lilli.has_indirect_call, 0
	.section	.AMDGPU.csdata,"",@progbits
; Kernel info:
; codeLenInByte = 1800
; TotalNumSgprs: 33
; NumVgprs: 13
; ScratchSize: 0
; MemoryBound: 0
; FloatMode: 240
; IeeeMode: 1
; LDSByteSize: 2048 bytes/workgroup (compile time only)
; SGPRBlocks: 0
; VGPRBlocks: 1
; NumSGPRsForWavesPerEU: 33
; NumVGPRsForWavesPerEU: 13
; Occupancy: 16
; WaveLimiterHint : 0
; COMPUTE_PGM_RSRC2:SCRATCH_EN: 0
; COMPUTE_PGM_RSRC2:USER_SGPR: 6
; COMPUTE_PGM_RSRC2:TRAP_HANDLER: 0
; COMPUTE_PGM_RSRC2:TGID_X_EN: 1
; COMPUTE_PGM_RSRC2:TGID_Y_EN: 0
; COMPUTE_PGM_RSRC2:TGID_Z_EN: 1
; COMPUTE_PGM_RSRC2:TIDIG_COMP_CNT: 0
	.section	.text._ZL29rocblas_trtri_diagonal_kernelILi16E19rocblas_complex_numIfEPKS1_PS1_Ev13rocblas_fill_17rocblas_diagonal_iT1_lillT2_lilli,"axG",@progbits,_ZL29rocblas_trtri_diagonal_kernelILi16E19rocblas_complex_numIfEPKS1_PS1_Ev13rocblas_fill_17rocblas_diagonal_iT1_lillT2_lilli,comdat
	.globl	_ZL29rocblas_trtri_diagonal_kernelILi16E19rocblas_complex_numIfEPKS1_PS1_Ev13rocblas_fill_17rocblas_diagonal_iT1_lillT2_lilli ; -- Begin function _ZL29rocblas_trtri_diagonal_kernelILi16E19rocblas_complex_numIfEPKS1_PS1_Ev13rocblas_fill_17rocblas_diagonal_iT1_lillT2_lilli
	.p2align	8
	.type	_ZL29rocblas_trtri_diagonal_kernelILi16E19rocblas_complex_numIfEPKS1_PS1_Ev13rocblas_fill_17rocblas_diagonal_iT1_lillT2_lilli,@function
_ZL29rocblas_trtri_diagonal_kernelILi16E19rocblas_complex_numIfEPKS1_PS1_Ev13rocblas_fill_17rocblas_diagonal_iT1_lillT2_lilli: ; @_ZL29rocblas_trtri_diagonal_kernelILi16E19rocblas_complex_numIfEPKS1_PS1_Ev13rocblas_fill_17rocblas_diagonal_iT1_lillT2_lilli
; %bb.0:
	s_load_dwordx4 s[16:19], s[4:5], 0x0
	s_waitcnt lgkmcnt(0)
	s_ashr_i32 s0, s18, 31
	s_lshr_b32 s0, s0, 27
	s_add_i32 s0, s18, s0
	s_ashr_i32 s0, s0, 5
	v_cvt_f32_u32_e32 v1, s0
	s_sub_i32 s2, 0, s0
	v_rcp_iflag_f32_e32 v1, v1
	v_mul_f32_e32 v1, 0x4f7ffffe, v1
	v_cvt_u32_f32_e32 v1, v1
	v_readfirstlane_b32 s1, v1
	s_mul_i32 s2, s2, s1
	s_mul_hi_u32 s2, s1, s2
	s_add_i32 s1, s1, s2
	s_mul_hi_u32 s1, s6, s1
	s_mul_i32 s2, s1, s0
	s_add_i32 s3, s1, 1
	s_sub_i32 s2, s6, s2
	s_sub_i32 s8, s2, s0
	s_cmp_ge_u32 s2, s0
	s_cselect_b32 s1, s3, s1
	s_cselect_b32 s2, s8, s2
	s_add_i32 s3, s1, 1
	s_cmp_ge_u32 s2, s0
	s_cselect_b32 s28, s3, s1
	s_mul_i32 s0, s28, s0
	s_sub_i32 s29, s6, s0
	s_lshl_b32 s0, s29, 4
	s_cmp_eq_u32 s18, s0
	s_cbranch_scc1 .LBB10_100
; %bb.1:
	s_sub_i32 s27, s18, s0
	v_mov_b32_e32 v1, v0
	s_min_u32 s26, s27, 16
	s_lshl_b32 s6, s26, 1
	v_cmp_gt_u32_e64 s2, s26, v0
	v_cmp_le_u32_e64 s0, s26, v0
	v_cmp_gt_u32_e64 s1, s6, v0
	v_cmp_le_u32_e32 vcc_lo, s6, v0
	s_and_saveexec_b32 s3, s0
	s_cbranch_execz .LBB10_7
; %bb.2:
                                        ; implicit-def: $vgpr1
	s_and_saveexec_b32 s8, vcc_lo
	s_xor_b32 s8, exec_lo, s8
; %bb.3:
	v_subrev_nc_u32_e32 v1, s6, v0
; %bb.4:
	s_andn2_saveexec_b32 s6, s8
; %bb.5:
	v_subrev_nc_u32_e32 v1, s26, v0
; %bb.6:
	s_or_b32 exec_lo, exec_lo, s6
.LBB10_7:
	s_or_b32 exec_lo, exec_lo, s3
	s_clause 0x2
	s_load_dword s18, s[4:5], 0x20
	s_load_dwordx8 s[8:15], s[4:5], 0x28
	s_load_dwordx4 s[20:23], s[4:5], 0x10
	v_cndmask_b32_e64 v2, 0, 0x1800, s1
	v_cndmask_b32_e64 v9, v2, 0x1000, s2
	s_waitcnt lgkmcnt(0)
	s_ashr_i32 s19, s18, 31
	s_mul_i32 s3, s9, s7
	s_mul_hi_u32 s6, s8, s7
	s_mul_i32 s2, s8, s7
	s_lshl_b64 s[8:9], s[18:19], 5
	s_add_i32 s3, s6, s3
	s_add_u32 s6, s8, 32
	s_mul_i32 s11, s11, s28
	s_mul_hi_u32 s24, s10, s28
	s_addc_u32 s8, s9, 0
	s_add_i32 s11, s24, s11
	s_mul_hi_u32 s9, s6, s29
	s_mul_i32 s24, s8, s29
	s_mul_i32 s8, s6, s29
	s_add_i32 s9, s9, s24
	s_mul_i32 s10, s10, s28
	s_and_saveexec_b32 s6, vcc_lo
	s_xor_b32 s6, exec_lo, s6
	s_cbranch_execz .LBB10_17
; %bb.8:
	s_mul_i32 s24, s26, 3
	s_mov_b32 s30, exec_lo
	v_cmpx_gt_u32_e64 s24, v0
	s_cbranch_execz .LBB10_16
; %bb.9:
	s_cmpk_eq_i32 s16, 0x7a
	s_mov_b32 s24, -1
	s_cbranch_scc1 .LBB10_13
; %bb.10:
	s_add_i32 s34, s26, -1
	s_lshl_b32 s33, s26, 3
	s_mul_i32 s25, s26, s34
	s_lshl_b64 s[36:37], s[10:11], 3
	s_lshl_b64 s[38:39], s[2:3], 3
	s_add_i32 s24, s26, 1
	s_lshl_b32 s31, s25, 3
	s_sub_i32 s25, 0, s33
	s_add_u32 s38, s36, s38
	s_addc_u32 s39, s37, s39
	s_lshl_b64 s[36:37], s[8:9], 3
	s_mov_b32 s35, 0
	v_lshlrev_b32_e32 v3, 3, v1
	s_add_u32 s36, s38, s36
	s_addc_u32 s37, s39, s37
	s_lshl_b64 s[34:35], s[34:35], 3
	v_ashrrev_i32_e32 v2, 31, v1
	s_add_u32 s33, s33, s34
	v_add3_u32 v4, s31, v3, v9
	s_mul_i32 s31, s33, s19
	s_mul_hi_u32 s34, s33, s18
	s_addc_u32 s35, 0, s35
	s_add_i32 s31, s34, s31
	s_mul_i32 s35, s35, s18
	s_mul_i32 s33, s33, s18
	s_add_i32 s31, s31, s35
	s_add_u32 s33, s36, s33
	s_addc_u32 s31, s37, s31
	s_lshl_b64 s[34:35], s[22:23], 3
	v_lshlrev_b64 v[2:3], 3, v[1:2]
	s_add_u32 s33, s33, s34
	s_addc_u32 s31, s31, s35
	s_add_u32 s33, s20, s33
	s_addc_u32 s31, s21, s31
	s_lshl_b64 s[34:35], s[18:19], 3
	v_add_co_u32 v2, vcc_lo, s33, v2
	v_add_co_ci_u32_e64 v3, null, s31, v3, vcc_lo
	s_sub_u32 s31, 0, s34
	s_subb_u32 s33, 0, s35
.LBB10_11:                              ; =>This Inner Loop Header: Depth=1
	global_load_dwordx2 v[5:6], v[2:3], off
	v_add_co_u32 v2, vcc_lo, v2, s31
	v_add_co_ci_u32_e64 v3, null, s33, v3, vcc_lo
	s_add_i32 s24, s24, -1
	s_cmp_gt_u32 s24, 1
	s_waitcnt vmcnt(0)
	ds_write_b64 v4, v[5:6]
	v_add_nc_u32_e32 v4, s25, v4
	s_cbranch_scc1 .LBB10_11
; %bb.12:
	s_mov_b32 s24, 0
.LBB10_13:
	s_and_b32 vcc_lo, exec_lo, s24
	s_cbranch_vccz .LBB10_16
; %bb.14:
	v_add_nc_u32_e32 v2, s26, v1
	s_lshl_b64 s[24:25], s[2:3], 3
	v_lshl_add_u32 v4, v1, 3, v9
	s_add_u32 s31, s20, s24
	s_addc_u32 s33, s21, s25
	v_ashrrev_i32_e32 v3, 31, v2
	s_lshl_b64 s[24:25], s[22:23], 3
	s_add_u32 s31, s31, s24
	s_addc_u32 s33, s33, s25
	s_lshl_b64 s[24:25], s[8:9], 3
	v_lshlrev_b64 v[2:3], 3, v[2:3]
	s_add_u32 s31, s31, s24
	s_addc_u32 s33, s33, s25
	s_lshl_b64 s[24:25], s[10:11], 3
	s_add_u32 s24, s31, s24
	s_addc_u32 s25, s33, s25
	v_add_co_u32 v2, vcc_lo, s24, v2
	v_add_co_ci_u32_e64 v3, null, s25, v3, vcc_lo
	s_lshl_b32 s31, s26, 3
	s_lshl_b64 s[24:25], s[18:19], 3
	s_mov_b32 s33, s26
.LBB10_15:                              ; =>This Inner Loop Header: Depth=1
	global_load_dwordx2 v[5:6], v[2:3], off
	v_add_co_u32 v2, vcc_lo, v2, s24
	v_add_co_ci_u32_e64 v3, null, s25, v3, vcc_lo
	s_add_i32 s33, s33, -1
	s_cmp_eq_u32 s33, 0
	s_waitcnt vmcnt(0)
	ds_write_b64 v4, v[5:6]
	v_add_nc_u32_e32 v4, s31, v4
	s_cbranch_scc0 .LBB10_15
.LBB10_16:
	s_or_b32 exec_lo, exec_lo, s30
.LBB10_17:
	s_andn2_saveexec_b32 s6, s6
	s_cbranch_execz .LBB10_31
; %bb.18:
	v_mov_b32_e32 v2, 0
	v_mov_b32_e32 v3, 0
	s_and_saveexec_b32 s24, s0
; %bb.19:
	s_add_u32 s25, s18, 1
	s_addc_u32 s30, s19, 0
	s_mul_hi_u32 s31, s25, s26
	s_mul_i32 s30, s30, s26
	s_add_i32 s31, s31, s30
	s_mul_i32 s30, s25, s26
	v_mov_b32_e32 v2, s30
	v_mov_b32_e32 v3, s31
; %bb.20:
	s_or_b32 exec_lo, exec_lo, s24
	v_lshlrev_b64 v[3:4], 3, v[2:3]
	s_cmpk_lg_i32 s16, 0x7a
	s_mov_b32 s24, -1
	s_cbranch_scc0 .LBB10_26
; %bb.21:
	s_lshl_b64 s[24:25], s[10:11], 3
	s_lshl_b64 s[30:31], s[2:3], 3
	s_add_i32 s33, s26, -1
	s_add_u32 s30, s24, s30
	s_addc_u32 s31, s25, s31
	s_lshl_b64 s[24:25], s[8:9], 3
	s_mul_hi_u32 s34, s18, s33
	s_add_u32 s30, s30, s24
	s_mul_i32 s24, s19, s33
	s_addc_u32 s31, s31, s25
	s_add_i32 s25, s34, s24
	s_mul_i32 s24, s18, s33
	v_ashrrev_i32_e32 v2, 31, v1
	s_lshl_b64 s[24:25], s[24:25], 3
	v_sub_nc_u32_e32 v8, s33, v1
	s_add_u32 s30, s30, s24
	s_addc_u32 s31, s31, s25
	s_lshl_b64 s[24:25], s[22:23], 3
	v_lshlrev_b64 v[5:6], 3, v[1:2]
	s_add_u32 s24, s24, s30
	s_addc_u32 s25, s25, s31
	v_add_co_u32 v2, vcc_lo, s24, v3
	v_add_co_ci_u32_e64 v7, null, s25, v4, vcc_lo
	s_lshl_b64 s[24:25], s[18:19], 3
	v_add_co_u32 v5, vcc_lo, v2, v5
	v_add_co_ci_u32_e64 v6, null, v7, v6, vcc_lo
	v_lshl_add_u32 v2, v8, 3, v9
	v_add_co_u32 v5, vcc_lo, s20, v5
	v_add_co_ci_u32_e64 v6, null, s21, v6, vcc_lo
	s_sub_u32 s24, 0, s24
	v_add_co_u32 v5, vcc_lo, v5, 4
	v_add_co_ci_u32_e64 v6, null, 0, v6, vcc_lo
	s_subb_u32 s25, 0, s25
	s_lshl_b32 s30, s26, 3
	s_mov_b32 s31, s26
	s_branch .LBB10_23
	.p2align	6
.LBB10_22:                              ;   in Loop: Header=BB10_23 Depth=1
	s_or_b32 exec_lo, exec_lo, s33
	v_add_co_u32 v5, vcc_lo, v5, s24
	s_waitcnt vmcnt(0)
	ds_write_b64 v2, v[7:8]
	v_add_co_ci_u32_e64 v6, null, s25, v6, vcc_lo
	v_add_nc_u32_e32 v2, s30, v2
	s_cmp_lt_i32 s31, 1
	s_cbranch_scc1 .LBB10_25
.LBB10_23:                              ; =>This Inner Loop Header: Depth=1
	v_mov_b32_e32 v7, 0
	v_mov_b32_e32 v8, 0
	s_add_i32 s31, s31, -1
	s_mov_b32 s33, exec_lo
	v_cmpx_ge_i32_e64 s31, v1
	s_cbranch_execz .LBB10_22
; %bb.24:                               ;   in Loop: Header=BB10_23 Depth=1
	global_load_dwordx2 v[7:8], v[5:6], off offset:-4
	s_branch .LBB10_22
.LBB10_25:
	s_mov_b32 s24, 0
.LBB10_26:
	s_and_b32 vcc_lo, exec_lo, s24
	s_cbranch_vccz .LBB10_31
; %bb.27:
	s_lshl_b64 s[10:11], s[10:11], 3
	s_lshl_b64 s[2:3], s[2:3], 3
	v_ashrrev_i32_e32 v2, 31, v1
	s_add_u32 s10, s10, s2
	s_addc_u32 s11, s11, s3
	s_lshl_b64 s[2:3], s[8:9], 3
	s_add_u32 s8, s10, s2
	s_addc_u32 s9, s11, s3
	s_lshl_b64 s[2:3], s[22:23], 3
	v_lshlrev_b64 v[5:6], 3, v[1:2]
	s_add_u32 s2, s2, s8
	s_addc_u32 s3, s3, s9
	v_add_co_u32 v2, vcc_lo, s2, v3
	v_add_co_ci_u32_e64 v3, null, s3, v4, vcc_lo
	s_lshl_b64 s[2:3], s[18:19], 3
	v_add_co_u32 v2, vcc_lo, v2, v5
	v_add_co_ci_u32_e64 v3, null, v3, v6, vcc_lo
	v_lshl_add_u32 v6, v1, 3, v9
	v_add_co_u32 v2, vcc_lo, s20, v2
	v_add_co_ci_u32_e64 v3, null, s21, v3, vcc_lo
	s_lshl_b32 s8, s26, 3
	v_add_co_u32 v2, vcc_lo, v2, 4
	v_add_co_ci_u32_e64 v3, null, 0, v3, vcc_lo
	s_mov_b32 s9, 0
	s_branch .LBB10_29
	.p2align	6
.LBB10_28:                              ;   in Loop: Header=BB10_29 Depth=1
	s_or_b32 exec_lo, exec_lo, s10
	v_add_co_u32 v2, vcc_lo, v2, s2
	s_waitcnt vmcnt(0)
	ds_write_b64 v6, v[4:5]
	v_add_co_ci_u32_e64 v3, null, s3, v3, vcc_lo
	v_add_nc_u32_e32 v6, s8, v6
	s_add_i32 s9, s9, 1
	s_cmp_eq_u32 s26, s9
	s_cbranch_scc1 .LBB10_31
.LBB10_29:                              ; =>This Inner Loop Header: Depth=1
	v_mov_b32_e32 v4, 0
	v_mov_b32_e32 v5, 0
	s_mov_b32 s10, exec_lo
	v_cmpx_le_i32_e64 s9, v1
	s_cbranch_execz .LBB10_28
; %bb.30:                               ;   in Loop: Header=BB10_29 Depth=1
	global_load_dwordx2 v[4:5], v[2:3], off offset:-4
	s_branch .LBB10_28
.LBB10_31:
	s_or_b32 exec_lo, exec_lo, s6
	s_waitcnt lgkmcnt(0)
	s_barrier
	buffer_gl0_inv
	s_and_saveexec_b32 s3, s1
	s_cbranch_execz .LBB10_44
; %bb.32:
	s_add_i32 s2, s26, 1
	s_cmpk_lg_i32 s17, 0x84
	v_mul_i32_i24_e32 v2, s2, v1
	s_mov_b32 s2, -1
	v_lshl_add_u32 v6, v2, 3, v9
	s_cbranch_scc0 .LBB10_42
; %bb.33:
	ds_read_b64 v[2:3], v6
	s_waitcnt lgkmcnt(0)
	v_cmp_neq_f32_e32 vcc_lo, 0, v2
	v_cmp_neq_f32_e64 s2, 0, v3
	s_or_b32 s2, vcc_lo, s2
	s_and_saveexec_b32 s6, s2
	s_xor_b32 s2, exec_lo, s6
	s_cbranch_execz .LBB10_39
; %bb.34:
	v_cmp_ngt_f32_e64 s6, |v2|, |v3|
                                        ; implicit-def: $vgpr4
	s_and_saveexec_b32 s8, s6
	s_xor_b32 s6, exec_lo, s8
	s_cbranch_execz .LBB10_36
; %bb.35:
	v_div_scale_f32 v4, null, v3, v3, v2
	v_div_scale_f32 v8, vcc_lo, v2, v3, v2
	v_rcp_f32_e32 v5, v4
	v_fma_f32 v7, -v4, v5, 1.0
	v_fmac_f32_e32 v5, v7, v5
	v_mul_f32_e32 v7, v8, v5
	v_fma_f32 v10, -v4, v7, v8
	v_fmac_f32_e32 v7, v10, v5
	v_fma_f32 v4, -v4, v7, v8
	v_div_fmas_f32 v4, v4, v5, v7
	v_div_fixup_f32 v4, v4, v3, v2
	v_fmac_f32_e32 v3, v2, v4
	v_div_scale_f32 v2, null, v3, v3, 1.0
	v_div_scale_f32 v8, vcc_lo, 1.0, v3, 1.0
	v_rcp_f32_e32 v5, v2
	v_fma_f32 v7, -v2, v5, 1.0
	v_fmac_f32_e32 v5, v7, v5
	v_mul_f32_e32 v7, v8, v5
	v_fma_f32 v10, -v2, v7, v8
	v_fmac_f32_e32 v7, v10, v5
	v_fma_f32 v2, -v2, v7, v8
	v_div_fmas_f32 v2, v2, v5, v7
	v_div_fixup_f32 v2, v2, v3, 1.0
	v_mul_f32_e32 v4, v4, v2
	v_xor_b32_e32 v5, 0x80000000, v2
                                        ; implicit-def: $vgpr2_vgpr3
.LBB10_36:
	s_andn2_saveexec_b32 s6, s6
	s_cbranch_execz .LBB10_38
; %bb.37:
	v_div_scale_f32 v4, null, v2, v2, v3
	v_div_scale_f32 v8, vcc_lo, v3, v2, v3
	v_rcp_f32_e32 v5, v4
	v_fma_f32 v7, -v4, v5, 1.0
	v_fmac_f32_e32 v5, v7, v5
	v_mul_f32_e32 v7, v8, v5
	v_fma_f32 v10, -v4, v7, v8
	v_fmac_f32_e32 v7, v10, v5
	v_fma_f32 v4, -v4, v7, v8
	v_div_fmas_f32 v4, v4, v5, v7
	v_div_fixup_f32 v5, v4, v2, v3
	v_fmac_f32_e32 v2, v3, v5
	v_div_scale_f32 v3, null, v2, v2, 1.0
	v_rcp_f32_e32 v4, v3
	v_fma_f32 v7, -v3, v4, 1.0
	v_fmac_f32_e32 v4, v7, v4
	v_div_scale_f32 v7, vcc_lo, 1.0, v2, 1.0
	v_mul_f32_e32 v8, v7, v4
	v_fma_f32 v10, -v3, v8, v7
	v_fmac_f32_e32 v8, v10, v4
	v_fma_f32 v3, -v3, v8, v7
	v_div_fmas_f32 v3, v3, v4, v8
	v_div_fixup_f32 v4, v3, v2, 1.0
	v_mul_f32_e64 v5, v5, -v4
.LBB10_38:
	s_or_b32 exec_lo, exec_lo, s6
	ds_write_b64 v6, v[4:5]
.LBB10_39:
	s_andn2_saveexec_b32 s2, s2
; %bb.40:
	v_mov_b32_e32 v2, 1.0
	v_mov_b32_e32 v3, 0
	ds_write_b64 v6, v[2:3]
; %bb.41:
	s_or_b32 exec_lo, exec_lo, s2
	s_mov_b32 s2, 0
.LBB10_42:
	s_andn2_b32 vcc_lo, exec_lo, s2
	s_cbranch_vccnz .LBB10_44
; %bb.43:
	v_mov_b32_e32 v2, 1.0
	v_mov_b32_e32 v3, 0
	ds_write_b64 v6, v[2:3]
.LBB10_44:
	s_or_b32 exec_lo, exec_lo, s3
	s_waitcnt lgkmcnt(0)
	s_barrier
	buffer_gl0_inv
	s_and_saveexec_b32 s2, s1
	s_cbranch_execz .LBB10_56
; %bb.45:
	s_add_i32 s3, s26, 1
	v_lshlrev_b32_e32 v3, 3, v1
	v_mul_i32_i24_e32 v4, s3, v1
	s_lshl_b32 s3, s26, 3
	v_add_nc_u32_e32 v5, 8, v9
	s_add_i32 s6, s3, 8
	v_add_nc_u32_e32 v2, v9, v3
	v_add3_u32 v3, v3, s3, v9
	v_lshl_add_u32 v4, v4, 3, v9
	s_mov_b32 s8, 0
	s_branch .LBB10_47
.LBB10_46:                              ;   in Loop: Header=BB10_47 Depth=1
	s_inst_prefetch 0x2
	v_add_nc_u32_e32 v3, s3, v3
	v_add_nc_u32_e32 v5, s6, v5
	s_cmp_eq_u32 s8, s26
	s_cbranch_scc1 .LBB10_56
.LBB10_47:                              ; =>This Loop Header: Depth=1
                                        ;     Child Loop BB10_52 Depth 2
	v_mov_b32_e32 v6, 0
	v_mov_b32_e32 v7, 0
	s_mul_i32 s9, s8, s26
	s_mov_b32 s10, exec_lo
	v_cmpx_lt_i32_e64 s8, v1
	s_cbranch_execz .LBB10_49
; %bb.48:                               ;   in Loop: Header=BB10_47 Depth=1
	s_lshl_b32 s11, s9, 3
	s_lshl_b32 s17, s8, 3
	v_add_nc_u32_e32 v6, s11, v2
	v_add3_u32 v8, s11, s17, v9
	ds_read_b64 v[6:7], v6
	ds_read_b64 v[10:11], v8
	s_waitcnt lgkmcnt(0)
	v_mul_f32_e32 v8, v11, v7
	v_mul_f32_e32 v7, v10, v7
	v_fma_f32 v8, v10, v6, -v8
	v_fmac_f32_e32 v7, v11, v6
	v_add_f32_e32 v6, 0, v8
	v_add_f32_e32 v7, 0, v7
.LBB10_49:                              ;   in Loop: Header=BB10_47 Depth=1
	s_or_b32 exec_lo, exec_lo, s10
	s_add_i32 s8, s8, 1
	s_cmp_ge_u32 s8, s26
	s_cbranch_scc1 .LBB10_46
; %bb.50:                               ;   in Loop: Header=BB10_47 Depth=1
	v_lshl_add_u32 v8, s9, 3, v2
	v_mov_b32_e32 v10, v5
	v_mov_b32_e32 v11, v3
	s_mov_b32 s9, s8
	s_inst_prefetch 0x1
	s_branch .LBB10_52
	.p2align	6
.LBB10_51:                              ;   in Loop: Header=BB10_52 Depth=2
	s_or_b32 exec_lo, exec_lo, s10
	v_add_nc_u32_e32 v11, s3, v11
	v_add_nc_u32_e32 v10, 8, v10
	s_add_i32 s9, s9, 1
	s_cmp_eq_u32 s26, s9
	s_cbranch_scc1 .LBB10_46
.LBB10_52:                              ;   Parent Loop BB10_47 Depth=1
                                        ; =>  This Inner Loop Header: Depth=2
	s_mov_b32 s10, exec_lo
	v_cmpx_eq_u32_e64 s9, v1
	s_cbranch_execz .LBB10_54
; %bb.53:                               ;   in Loop: Header=BB10_52 Depth=2
	ds_read_b64 v[12:13], v4
	v_sub_f32_e32 v15, 0, v6
	s_waitcnt lgkmcnt(0)
	v_mul_f32_e32 v14, v7, v13
	v_mul_f32_e32 v16, v7, v12
	v_fmac_f32_e32 v14, v15, v12
	v_fma_f32 v15, -v6, v13, -v16
	ds_write_b64 v8, v[14:15]
.LBB10_54:                              ;   in Loop: Header=BB10_52 Depth=2
	s_or_b32 exec_lo, exec_lo, s10
	s_mov_b32 s10, exec_lo
	v_cmpx_lt_i32_e64 s9, v1
	s_cbranch_execz .LBB10_51
; %bb.55:                               ;   in Loop: Header=BB10_52 Depth=2
	ds_read_b64 v[12:13], v11
	ds_read_b64 v[14:15], v10
	s_waitcnt lgkmcnt(0)
	v_mul_f32_e32 v16, v15, v13
	v_mul_f32_e32 v13, v14, v13
	v_fma_f32 v14, v14, v12, -v16
	v_fmac_f32_e32 v13, v15, v12
	v_add_f32_e32 v6, v6, v14
	v_add_f32_e32 v7, v7, v13
	s_branch .LBB10_51
.LBB10_56:
	s_or_b32 exec_lo, exec_lo, s2
	s_and_b32 s2, s26, 0xffff
	v_cvt_f32_ubyte0_e32 v4, v0
	v_cvt_f32_u32_e32 v2, s2
	s_mul_i32 s2, s26, s26
	s_cmpk_lg_i32 s16, 0x7a
	v_cmp_gt_u32_e64 s2, s2, v0
	s_cselect_b32 s3, -1, 0
	v_rcp_iflag_f32_e32 v3, v2
	s_mov_b32 s6, 0
	s_waitcnt lgkmcnt(0)
	s_barrier
	buffer_gl0_inv
	v_mul_f32_e32 v3, v4, v3
	v_trunc_f32_e32 v3, v3
	v_fma_f32 v4, -v3, v2, v4
	v_cvt_u32_f32_e32 v3, v3
	v_cmp_ge_f32_e64 vcc_lo, |v4|, v2
	v_add_co_ci_u32_e64 v2, null, 0, v3, vcc_lo
	s_and_b32 vcc_lo, exec_lo, s3
	v_mul_lo_u16 v3, v2, s26
	v_and_b32_e32 v4, 0xffff, v2
	v_sub_nc_u16 v3, v0, v3
	v_and_b32_e32 v0, 0xffff, v3
	s_cbranch_vccz .LBB10_62
; %bb.57:
	s_mov_b32 s8, 0
                                        ; implicit-def: $vgpr2
                                        ; implicit-def: $vgpr3
	s_and_saveexec_b32 s9, s2
	s_cbranch_execz .LBB10_61
; %bb.58:
	v_lshlrev_b32_e32 v3, 7, v4
	v_lshlrev_b32_e32 v5, 3, v0
	v_mov_b32_e32 v2, 0
	v_mov_b32_e32 v7, 0
	s_mov_b32 s10, -1
	v_sub_nc_u32_e32 v6, 0x1ff8, v3
	.p2align	6
.LBB10_59:                              ; =>This Inner Loop Header: Depth=1
	ds_read_b64 v[10:11], v5
	ds_read_b64 v[12:13], v6
	s_add_i32 s10, s10, 1
	v_add_nc_u32_e32 v6, -8, v6
	v_cmp_ge_u32_e32 vcc_lo, s10, v4
	v_add_nc_u32_e32 v5, 0x80, v5
	s_or_b32 s6, vcc_lo, s6
	s_waitcnt lgkmcnt(0)
	v_mul_f32_e32 v8, v13, v11
	v_mul_f32_e32 v11, v12, v11
	v_fma_f32 v8, v12, v10, -v8
	v_fmac_f32_e32 v11, v13, v10
	v_add_f32_e32 v7, v7, v8
	v_add_f32_e32 v2, v2, v11
	s_andn2_b32 exec_lo, exec_lo, s6
	s_cbranch_execnz .LBB10_59
; %bb.60:
	s_or_b32 exec_lo, exec_lo, s6
	v_lshl_add_u32 v5, v0, 3, v3
	s_mov_b32 s6, exec_lo
	v_add_nc_u32_e32 v3, 0x800, v5
	ds_write_b32 v5, v7 offset:2048
.LBB10_61:
	s_or_b32 exec_lo, exec_lo, s9
	s_and_b32 vcc_lo, exec_lo, s8
	s_cbranch_vccnz .LBB10_63
	s_branch .LBB10_72
.LBB10_62:
                                        ; implicit-def: $vgpr2
                                        ; implicit-def: $vgpr3
	s_cbranch_execz .LBB10_72
.LBB10_63:
                                        ; implicit-def: $vgpr2
                                        ; implicit-def: $vgpr3
	s_and_saveexec_b32 s8, s2
	s_cbranch_execz .LBB10_71
; %bb.64:
	v_lshlrev_b32_e32 v3, 7, v4
	s_mov_b32 s9, exec_lo
	v_cmpx_lt_u16_e32 15, v4
	s_xor_b32 s9, exec_lo, s9
; %bb.65:
	v_lshlrev_b32_e32 v3, 7, v4
; %bb.66:
	s_or_saveexec_b32 s9, s9
	v_mov_b32_e32 v2, 0
	v_mov_b32_e32 v5, 0
	s_xor_b32 exec_lo, exec_lo, s9
	s_cbranch_execz .LBB10_70
; %bb.67:
	s_movk_i32 s10, 0x88
	v_add_nc_u32_e32 v6, -1, v4
	v_mad_u32_u24 v7, v4, s10, 0x1000
	v_lshl_add_u32 v8, v0, 3, v3
	v_mov_b32_e32 v2, 0
	v_mov_b32_e32 v5, 0
	s_mov_b32 s10, 0
	.p2align	6
.LBB10_68:                              ; =>This Inner Loop Header: Depth=1
	ds_read_b64 v[10:11], v8
	ds_read_b64 v[12:13], v7
	v_add_nc_u32_e32 v6, 1, v6
	v_add_nc_u32_e32 v7, 8, v7
	;; [unrolled: 1-line block ×3, first 2 shown]
	v_cmp_lt_u32_e32 vcc_lo, 14, v6
	s_or_b32 s10, vcc_lo, s10
	s_waitcnt lgkmcnt(0)
	v_mul_f32_e32 v14, v13, v11
	v_mul_f32_e32 v11, v12, v11
	v_fma_f32 v12, v12, v10, -v14
	v_fmac_f32_e32 v11, v13, v10
	v_add_f32_e32 v5, v5, v12
	v_add_f32_e32 v2, v2, v11
	s_andn2_b32 exec_lo, exec_lo, s10
	s_cbranch_execnz .LBB10_68
; %bb.69:
	s_or_b32 exec_lo, exec_lo, s10
.LBB10_70:
	s_or_b32 exec_lo, exec_lo, s9
	v_lshl_add_u32 v6, v0, 3, v3
	s_or_b32 s6, s6, exec_lo
	v_add_nc_u32_e32 v3, 0x800, v6
	ds_write_b32 v6, v5 offset:2048
.LBB10_71:
	s_or_b32 exec_lo, exec_lo, s8
.LBB10_72:
	s_and_saveexec_b32 s8, s6
; %bb.73:
	ds_write_b32 v3, v2 offset:4
; %bb.74:
	s_or_b32 exec_lo, exec_lo, s8
	s_clause 0x1
	s_load_dwordx4 s[16:19], s[4:5], 0x50
	s_load_dword s4, s[4:5], 0x48
	s_waitcnt lgkmcnt(0)
	s_barrier
	buffer_gl0_inv
	s_mul_i32 s5, s17, s7
	s_mul_hi_u32 s8, s16, s7
	s_mul_i32 s6, s16, s7
	s_add_i32 s7, s8, s5
	s_ashr_i32 s5, s4, 31
	s_lshl_b64 s[8:9], s[6:7], 3
	s_mul_i32 s17, s19, s28
	s_add_u32 s10, s12, s8
	s_addc_u32 s11, s13, s9
	s_lshl_b64 s[6:7], s[14:15], 3
	s_mul_hi_u32 s19, s18, s28
	s_add_u32 s15, s10, s6
	s_addc_u32 s16, s11, s7
	s_lshl_b64 s[10:11], s[4:5], 5
	s_add_u32 s10, s10, 32
	s_addc_u32 s11, s11, 0
	s_mul_hi_u32 s14, s10, s29
	s_mul_i32 s11, s11, s29
	s_mul_i32 s10, s10, s29
	s_add_i32 s11, s14, s11
	s_mul_i32 s14, s18, s28
	s_lshl_b64 s[10:11], s[10:11], 3
	s_add_u32 s18, s15, s10
	s_addc_u32 s20, s16, s11
	s_add_i32 s15, s19, s17
	s_lshl_b64 s[14:15], s[14:15], 3
	s_add_u32 s16, s18, s14
	s_addc_u32 s17, s20, s15
	s_and_b32 vcc_lo, exec_lo, s3
	s_cbranch_vccz .LBB10_80
; %bb.75:
	s_mov_b32 s19, 0
	s_mov_b32 s18, 0
                                        ; implicit-def: $vgpr5
                                        ; implicit-def: $vgpr2_vgpr3
	s_and_saveexec_b32 s20, s2
	s_cbranch_execz .LBB10_79
; %bb.76:
	v_lshlrev_b32_e32 v2, 3, v0
	s_lshl_b32 s21, s26, 3
	v_mul_u32_u24_e32 v5, s26, v4
	v_mov_b32_e32 v6, 0
	v_sub_nc_u32_e32 v3, s21, v2
	s_sub_i32 s21, 0, s21
	v_lshlrev_b32_e32 v5, 3, v5
	v_mul_i32_i24_e32 v3, s26, v3
	v_add3_u32 v7, v5, v2, 0x800
	v_mov_b32_e32 v5, 0
	v_sub_nc_u32_e32 v8, v3, v2
	v_add_nc_u32_e32 v3, -1, v0
	v_add_nc_u32_e32 v8, 0xff8, v8
	.p2align	6
.LBB10_77:                              ; =>This Inner Loop Header: Depth=1
	ds_read_b64 v[10:11], v8
	ds_read_b64 v[12:13], v7
	v_add_nc_u32_e32 v3, 1, v3
	v_add_nc_u32_e32 v7, 8, v7
	;; [unrolled: 1-line block ×3, first 2 shown]
	v_cmp_lt_u32_e32 vcc_lo, 14, v3
	s_or_b32 s18, vcc_lo, s18
	s_waitcnt lgkmcnt(0)
	v_mul_f32_e32 v14, v10, v12
	v_mul_f32_e32 v10, v10, v13
	v_fma_f32 v13, v11, v13, -v14
	v_fma_f32 v10, v12, -v11, -v10
	v_add_f32_e32 v6, v6, v13
	v_add_f32_e32 v5, v5, v10
	s_andn2_b32 exec_lo, exec_lo, s18
	s_cbranch_execnz .LBB10_77
; %bb.78:
	s_or_b32 exec_lo, exec_lo, s18
	v_mad_i64_i32 v[7:8], null, v4, s4, 0
	s_mul_hi_i32 s23, s26, s4
	s_mul_i32 s22, s26, s4
	s_mov_b32 s18, exec_lo
	s_lshl_b64 s[22:23], s[22:23], 3
	s_add_u32 s21, s16, s22
	v_lshlrev_b64 v[7:8], 3, v[7:8]
	s_addc_u32 s22, s17, s23
	v_add_co_u32 v2, s21, s21, v2
	v_add_co_ci_u32_e64 v3, null, s22, 0, s21
	v_add_co_u32 v2, vcc_lo, v2, v7
	v_add_co_ci_u32_e64 v3, null, v3, v8, vcc_lo
	global_store_dword v[2:3], v6, off
.LBB10_79:
	s_or_b32 exec_lo, exec_lo, s20
	s_and_b32 vcc_lo, exec_lo, s19
	s_cbranch_vccnz .LBB10_81
	s_branch .LBB10_86
.LBB10_80:
	s_mov_b32 s18, 0
                                        ; implicit-def: $vgpr5
                                        ; implicit-def: $vgpr2_vgpr3
	s_cbranch_execz .LBB10_86
.LBB10_81:
                                        ; implicit-def: $vgpr5
                                        ; implicit-def: $vgpr2_vgpr3
	s_and_saveexec_b32 s19, s2
	s_cbranch_execz .LBB10_85
; %bb.82:
	v_mul_u32_u24_e32 v3, s26, v4
	v_lshl_add_u32 v2, v0, 3, 0x1800
	v_mov_b32_e32 v6, 0
	v_mov_b32_e32 v5, 0
	s_lshl_b32 s2, s26, 3
	v_lshl_add_u32 v3, v3, 3, 0x800
	s_mov_b32 s21, -1
	s_mov_b32 s20, 0
	.p2align	6
.LBB10_83:                              ; =>This Inner Loop Header: Depth=1
	ds_read_b64 v[7:8], v2
	ds_read_b64 v[10:11], v3
	s_add_i32 s21, s21, 1
	v_add_nc_u32_e32 v3, 8, v3
	v_cmp_ge_u32_e32 vcc_lo, s21, v0
	v_add_nc_u32_e32 v2, s2, v2
	s_or_b32 s20, vcc_lo, s20
	s_waitcnt lgkmcnt(0)
	v_mul_f32_e32 v12, v7, v10
	v_mul_f32_e32 v7, v7, v11
	v_fma_f32 v11, v8, v11, -v12
	v_fma_f32 v7, v10, -v8, -v7
	v_add_f32_e32 v6, v6, v11
	v_add_f32_e32 v5, v5, v7
	s_andn2_b32 exec_lo, exec_lo, s20
	s_cbranch_execnz .LBB10_83
; %bb.84:
	s_or_b32 exec_lo, exec_lo, s20
	v_mad_i64_i32 v[2:3], null, v4, s4, 0
	v_add_lshl_u32 v0, s26, v0, 3
	s_or_b32 s18, s18, exec_lo
	v_lshlrev_b64 v[2:3], 3, v[2:3]
	v_add_co_u32 v2, vcc_lo, s16, v2
	v_add_co_ci_u32_e64 v3, null, s17, v3, vcc_lo
	v_add_co_u32 v2, vcc_lo, v2, v0
	v_add_co_ci_u32_e64 v3, null, 0, v3, vcc_lo
	global_store_dword v[2:3], v6, off
.LBB10_85:
	s_or_b32 exec_lo, exec_lo, s19
.LBB10_86:
	s_and_saveexec_b32 s2, s18
	s_cbranch_execz .LBB10_88
; %bb.87:
	global_store_dword v[2:3], v5, off offset:4
.LBB10_88:
	s_or_b32 exec_lo, exec_lo, s2
	s_and_saveexec_b32 s2, s1
	s_cbranch_execz .LBB10_100
; %bb.89:
	v_mov_b32_e32 v3, 0
	v_mov_b32_e32 v4, 0
	s_and_saveexec_b32 s1, s0
	s_cbranch_execnz .LBB10_92
; %bb.90:
	s_or_b32 exec_lo, exec_lo, s1
	s_and_b32 vcc_lo, exec_lo, s3
	s_mov_b32 s0, -1
	s_cbranch_vccnz .LBB10_93
.LBB10_91:
	s_andn2_b32 vcc_lo, exec_lo, s0
	s_cbranch_vccz .LBB10_97
	s_branch .LBB10_100
.LBB10_92:
	s_add_u32 s0, s4, 1
	s_addc_u32 s2, s5, 0
	s_mul_hi_u32 s18, s0, s26
	s_mul_i32 s2, s2, s26
	s_add_i32 s19, s18, s2
	s_mul_i32 s18, s0, s26
	v_mov_b32_e32 v3, s18
	v_mov_b32_e32 v4, s19
	s_or_b32 exec_lo, exec_lo, s1
	s_and_b32 vcc_lo, exec_lo, s3
	s_mov_b32 s0, -1
	s_cbranch_vccz .LBB10_91
.LBB10_93:
	s_mov_b32 s1, exec_lo
	v_cmpx_gt_i32_e64 s26, v1
	s_cbranch_execz .LBB10_96
; %bb.94:
	s_cmp_lt_u32 s27, 16
	v_ashrrev_i32_e32 v2, 31, v1
	s_cselect_b32 s0, s27, 16
	s_cselect_b32 s2, 0, 0
	s_add_u32 s0, s0, -1
	s_addc_u32 s2, s2, -1
	s_mul_i32 s3, s0, s5
	s_mul_hi_u32 s18, s0, s4
	s_mul_i32 s2, s2, s4
	s_add_i32 s3, s18, s3
	v_lshlrev_b64 v[5:6], 3, v[3:4]
	s_add_i32 s3, s3, s2
	s_mul_i32 s2, s0, s4
	v_lshlrev_b64 v[7:8], 3, v[1:2]
	s_lshl_b64 s[2:3], s[2:3], 3
	v_xad_u32 v0, v1, -1, s26
	s_add_u32 s0, s2, s14
	s_addc_u32 s2, s3, s15
	s_add_u32 s0, s0, s8
	s_addc_u32 s2, s2, s9
	;; [unrolled: 2-line block ×4, first 2 shown]
	v_add_co_u32 v2, vcc_lo, s0, v5
	v_add_co_ci_u32_e64 v5, null, s2, v6, vcc_lo
	v_lshl_add_u32 v0, v0, 3, v9
	v_add_co_u32 v2, vcc_lo, v2, v7
	v_add_co_ci_u32_e64 v6, null, v5, v8, vcc_lo
	s_lshl_b64 s[6:7], s[4:5], 3
	v_add_co_u32 v5, vcc_lo, s12, v2
	v_add_co_ci_u32_e64 v6, null, s13, v6, vcc_lo
	s_sub_u32 s3, 0, s6
	s_mov_b32 s2, 0
	s_subb_u32 s6, 0, s7
	s_lshl_b32 s7, s26, 3
	s_mov_b32 s8, s26
.LBB10_95:                              ; =>This Inner Loop Header: Depth=1
	ds_read_b64 v[7:8], v0
	s_add_i32 s8, s8, -1
	v_add_nc_u32_e32 v0, s7, v0
	v_cmp_le_i32_e32 vcc_lo, s8, v1
	s_or_b32 s2, vcc_lo, s2
	s_waitcnt lgkmcnt(0)
	global_store_dwordx2 v[5:6], v[7:8], off
	v_add_co_u32 v5, s0, v5, s3
	v_add_co_ci_u32_e64 v6, null, s6, v6, s0
	s_andn2_b32 exec_lo, exec_lo, s2
	s_cbranch_execnz .LBB10_95
.LBB10_96:
	s_or_b32 exec_lo, exec_lo, s1
	s_cbranch_execnz .LBB10_100
.LBB10_97:
	v_cmp_lt_i32_e32 vcc_lo, -1, v1
	s_and_b32 exec_lo, exec_lo, vcc_lo
	s_cbranch_execz .LBB10_100
; %bb.98:
	v_mov_b32_e32 v2, 0
	v_lshlrev_b64 v[3:4], 3, v[3:4]
	v_lshl_add_u32 v0, v1, 3, v9
	s_lshl_b64 s[2:3], s[4:5], 3
	s_lshl_b32 s1, s26, 3
	v_lshlrev_b64 v[5:6], 3, v[1:2]
	v_add_nc_u32_e32 v1, 1, v1
	v_add_co_u32 v2, vcc_lo, s16, v3
	v_add_co_ci_u32_e64 v3, null, s17, v4, vcc_lo
	s_mov_b32 s4, 0
	v_add_co_u32 v2, vcc_lo, v2, v5
	v_add_co_ci_u32_e64 v3, null, v3, v6, vcc_lo
.LBB10_99:                              ; =>This Inner Loop Header: Depth=1
	ds_read_b64 v[4:5], v0
	v_add_nc_u32_e32 v1, -1, v1
	v_add_nc_u32_e32 v0, s1, v0
	v_cmp_eq_u32_e32 vcc_lo, 0, v1
	s_or_b32 s4, vcc_lo, s4
	s_waitcnt lgkmcnt(0)
	global_store_dwordx2 v[2:3], v[4:5], off
	v_add_co_u32 v2, s0, v2, s2
	v_add_co_ci_u32_e64 v3, null, s3, v3, s0
	s_andn2_b32 exec_lo, exec_lo, s4
	s_cbranch_execnz .LBB10_99
.LBB10_100:
	s_endpgm
	.section	.rodata,"a",@progbits
	.p2align	6, 0x0
	.amdhsa_kernel _ZL29rocblas_trtri_diagonal_kernelILi16E19rocblas_complex_numIfEPKS1_PS1_Ev13rocblas_fill_17rocblas_diagonal_iT1_lillT2_lilli
		.amdhsa_group_segment_fixed_size 8192
		.amdhsa_private_segment_fixed_size 0
		.amdhsa_kernarg_size 100
		.amdhsa_user_sgpr_count 6
		.amdhsa_user_sgpr_private_segment_buffer 1
		.amdhsa_user_sgpr_dispatch_ptr 0
		.amdhsa_user_sgpr_queue_ptr 0
		.amdhsa_user_sgpr_kernarg_segment_ptr 1
		.amdhsa_user_sgpr_dispatch_id 0
		.amdhsa_user_sgpr_flat_scratch_init 0
		.amdhsa_user_sgpr_private_segment_size 0
		.amdhsa_wavefront_size32 1
		.amdhsa_uses_dynamic_stack 0
		.amdhsa_system_sgpr_private_segment_wavefront_offset 0
		.amdhsa_system_sgpr_workgroup_id_x 1
		.amdhsa_system_sgpr_workgroup_id_y 0
		.amdhsa_system_sgpr_workgroup_id_z 1
		.amdhsa_system_sgpr_workgroup_info 0
		.amdhsa_system_vgpr_workitem_id 0
		.amdhsa_next_free_vgpr 17
		.amdhsa_next_free_sgpr 40
		.amdhsa_reserve_vcc 1
		.amdhsa_reserve_flat_scratch 0
		.amdhsa_float_round_mode_32 0
		.amdhsa_float_round_mode_16_64 0
		.amdhsa_float_denorm_mode_32 3
		.amdhsa_float_denorm_mode_16_64 3
		.amdhsa_dx10_clamp 1
		.amdhsa_ieee_mode 1
		.amdhsa_fp16_overflow 0
		.amdhsa_workgroup_processor_mode 1
		.amdhsa_memory_ordered 1
		.amdhsa_forward_progress 1
		.amdhsa_shared_vgpr_count 0
		.amdhsa_exception_fp_ieee_invalid_op 0
		.amdhsa_exception_fp_denorm_src 0
		.amdhsa_exception_fp_ieee_div_zero 0
		.amdhsa_exception_fp_ieee_overflow 0
		.amdhsa_exception_fp_ieee_underflow 0
		.amdhsa_exception_fp_ieee_inexact 0
		.amdhsa_exception_int_div_zero 0
	.end_amdhsa_kernel
	.section	.text._ZL29rocblas_trtri_diagonal_kernelILi16E19rocblas_complex_numIfEPKS1_PS1_Ev13rocblas_fill_17rocblas_diagonal_iT1_lillT2_lilli,"axG",@progbits,_ZL29rocblas_trtri_diagonal_kernelILi16E19rocblas_complex_numIfEPKS1_PS1_Ev13rocblas_fill_17rocblas_diagonal_iT1_lillT2_lilli,comdat
.Lfunc_end10:
	.size	_ZL29rocblas_trtri_diagonal_kernelILi16E19rocblas_complex_numIfEPKS1_PS1_Ev13rocblas_fill_17rocblas_diagonal_iT1_lillT2_lilli, .Lfunc_end10-_ZL29rocblas_trtri_diagonal_kernelILi16E19rocblas_complex_numIfEPKS1_PS1_Ev13rocblas_fill_17rocblas_diagonal_iT1_lillT2_lilli
                                        ; -- End function
	.set _ZL29rocblas_trtri_diagonal_kernelILi16E19rocblas_complex_numIfEPKS1_PS1_Ev13rocblas_fill_17rocblas_diagonal_iT1_lillT2_lilli.num_vgpr, 17
	.set _ZL29rocblas_trtri_diagonal_kernelILi16E19rocblas_complex_numIfEPKS1_PS1_Ev13rocblas_fill_17rocblas_diagonal_iT1_lillT2_lilli.num_agpr, 0
	.set _ZL29rocblas_trtri_diagonal_kernelILi16E19rocblas_complex_numIfEPKS1_PS1_Ev13rocblas_fill_17rocblas_diagonal_iT1_lillT2_lilli.numbered_sgpr, 40
	.set _ZL29rocblas_trtri_diagonal_kernelILi16E19rocblas_complex_numIfEPKS1_PS1_Ev13rocblas_fill_17rocblas_diagonal_iT1_lillT2_lilli.num_named_barrier, 0
	.set _ZL29rocblas_trtri_diagonal_kernelILi16E19rocblas_complex_numIfEPKS1_PS1_Ev13rocblas_fill_17rocblas_diagonal_iT1_lillT2_lilli.private_seg_size, 0
	.set _ZL29rocblas_trtri_diagonal_kernelILi16E19rocblas_complex_numIfEPKS1_PS1_Ev13rocblas_fill_17rocblas_diagonal_iT1_lillT2_lilli.uses_vcc, 1
	.set _ZL29rocblas_trtri_diagonal_kernelILi16E19rocblas_complex_numIfEPKS1_PS1_Ev13rocblas_fill_17rocblas_diagonal_iT1_lillT2_lilli.uses_flat_scratch, 0
	.set _ZL29rocblas_trtri_diagonal_kernelILi16E19rocblas_complex_numIfEPKS1_PS1_Ev13rocblas_fill_17rocblas_diagonal_iT1_lillT2_lilli.has_dyn_sized_stack, 0
	.set _ZL29rocblas_trtri_diagonal_kernelILi16E19rocblas_complex_numIfEPKS1_PS1_Ev13rocblas_fill_17rocblas_diagonal_iT1_lillT2_lilli.has_recursion, 0
	.set _ZL29rocblas_trtri_diagonal_kernelILi16E19rocblas_complex_numIfEPKS1_PS1_Ev13rocblas_fill_17rocblas_diagonal_iT1_lillT2_lilli.has_indirect_call, 0
	.section	.AMDGPU.csdata,"",@progbits
; Kernel info:
; codeLenInByte = 4156
; TotalNumSgprs: 42
; NumVgprs: 17
; ScratchSize: 0
; MemoryBound: 0
; FloatMode: 240
; IeeeMode: 1
; LDSByteSize: 8192 bytes/workgroup (compile time only)
; SGPRBlocks: 0
; VGPRBlocks: 2
; NumSGPRsForWavesPerEU: 42
; NumVGPRsForWavesPerEU: 17
; Occupancy: 16
; WaveLimiterHint : 0
; COMPUTE_PGM_RSRC2:SCRATCH_EN: 0
; COMPUTE_PGM_RSRC2:USER_SGPR: 6
; COMPUTE_PGM_RSRC2:TRAP_HANDLER: 0
; COMPUTE_PGM_RSRC2:TGID_X_EN: 1
; COMPUTE_PGM_RSRC2:TGID_Y_EN: 0
; COMPUTE_PGM_RSRC2:TGID_Z_EN: 1
; COMPUTE_PGM_RSRC2:TIDIG_COMP_CNT: 0
	.section	.text._ZL30rocblas_trtri_remainder_kernelILi16E19rocblas_complex_numIfEPKS1_PS1_Ev13rocblas_fill_17rocblas_diagonal_iT1_lillT2_lilli,"axG",@progbits,_ZL30rocblas_trtri_remainder_kernelILi16E19rocblas_complex_numIfEPKS1_PS1_Ev13rocblas_fill_17rocblas_diagonal_iT1_lillT2_lilli,comdat
	.globl	_ZL30rocblas_trtri_remainder_kernelILi16E19rocblas_complex_numIfEPKS1_PS1_Ev13rocblas_fill_17rocblas_diagonal_iT1_lillT2_lilli ; -- Begin function _ZL30rocblas_trtri_remainder_kernelILi16E19rocblas_complex_numIfEPKS1_PS1_Ev13rocblas_fill_17rocblas_diagonal_iT1_lillT2_lilli
	.p2align	8
	.type	_ZL30rocblas_trtri_remainder_kernelILi16E19rocblas_complex_numIfEPKS1_PS1_Ev13rocblas_fill_17rocblas_diagonal_iT1_lillT2_lilli,@function
_ZL30rocblas_trtri_remainder_kernelILi16E19rocblas_complex_numIfEPKS1_PS1_Ev13rocblas_fill_17rocblas_diagonal_iT1_lillT2_lilli: ; @_ZL30rocblas_trtri_remainder_kernelILi16E19rocblas_complex_numIfEPKS1_PS1_Ev13rocblas_fill_17rocblas_diagonal_iT1_lillT2_lilli
; %bb.0:
	s_load_dwordx4 s[16:19], s[4:5], 0x0
	s_waitcnt lgkmcnt(0)
	s_cmp_lt_i32 s18, 1
	s_cbranch_scc1 .LBB11_43
; %bb.1:
	s_load_dwordx8 s[8:15], s[4:5], 0x28
	v_cmp_le_u32_e64 s1, s18, v0
	v_cmp_gt_u32_e64 s0, s18, v0
	s_and_saveexec_b32 s3, s0
	s_cbranch_execz .LBB11_9
; %bb.2:
	s_clause 0x1
	s_load_dwordx4 s[20:23], s[4:5], 0x10
	s_load_dword s24, s[4:5], 0x20
	s_waitcnt lgkmcnt(0)
	s_mul_i32 s2, s9, s7
	s_mul_hi_u32 s9, s8, s7
	s_mul_i32 s8, s8, s7
	s_add_i32 s9, s9, s2
	s_mul_i32 s2, s11, s6
	s_mul_hi_u32 s11, s10, s6
	s_mul_i32 s10, s10, s6
	s_add_i32 s11, s11, s2
	s_cmpk_lg_i32 s16, 0x7a
	s_mov_b32 s2, -1
	s_cbranch_scc0 .LBB11_6
; %bb.3:
	s_add_i32 s2, s18, -1
	s_ashr_i32 s25, s24, 31
	s_lshl_b64 s[26:27], s[10:11], 3
	s_lshl_b64 s[28:29], s[8:9], 3
	s_lshl_b32 s19, s18, 3
	s_add_u32 s28, s26, s28
	s_mul_i32 s26, s25, s2
	s_mul_hi_u32 s30, s24, s2
	s_addc_u32 s29, s27, s29
	s_add_i32 s27, s30, s26
	s_mul_i32 s26, s24, s2
	v_sub_nc_u32_e32 v1, s2, v0
	s_lshl_b64 s[26:27], s[26:27], 3
	s_add_u32 s2, s28, s26
	s_addc_u32 s28, s29, s27
	s_lshl_b64 s[26:27], s[22:23], 3
	v_lshlrev_b32_e32 v3, 3, v1
	v_lshlrev_b32_e32 v1, 3, v0
	s_add_u32 s2, s2, s26
	s_addc_u32 s26, s28, s27
	s_add_u32 s2, s20, s2
	s_addc_u32 s28, s21, s26
	v_add_co_u32 v1, s2, s2, v1
	s_lshl_b64 s[26:27], s[24:25], 3
	v_add_co_ci_u32_e64 v2, null, s28, 0, s2
	s_sub_u32 s25, 0, s26
	s_subb_u32 s27, 0, s27
	s_mov_b32 s26, 0
	s_mov_b32 s28, s18
.LBB11_4:                               ; =>This Inner Loop Header: Depth=1
	global_load_dwordx2 v[4:5], v[1:2], off
	s_add_i32 s28, s28, -1
	v_add_co_u32 v1, vcc_lo, v1, s25
	v_cmp_le_u32_e64 s2, s28, v0
	v_add_co_ci_u32_e64 v2, null, s27, v2, vcc_lo
	s_or_b32 s26, s2, s26
	s_waitcnt vmcnt(0)
	ds_write_b64 v3, v[4:5]
	v_add_nc_u32_e32 v3, s19, v3
	s_andn2_b32 exec_lo, exec_lo, s26
	s_cbranch_execnz .LBB11_4
; %bb.5:
	s_or_b32 exec_lo, exec_lo, s26
	s_mov_b32 s2, 0
.LBB11_6:
	s_and_b32 vcc_lo, exec_lo, s2
	s_cbranch_vccz .LBB11_9
; %bb.7:
	s_lshl_b64 s[8:9], s[8:9], 3
	v_lshlrev_b32_e32 v3, 3, v0
	s_add_u32 s2, s20, s8
	s_addc_u32 s19, s21, s9
	s_lshl_b64 s[8:9], s[22:23], 3
	v_add_nc_u32_e32 v4, 1, v0
	s_add_u32 s2, s2, s8
	s_addc_u32 s19, s19, s9
	s_lshl_b64 s[8:9], s[10:11], 3
	s_mov_b32 s11, 0
	s_add_u32 s2, s2, s8
	s_addc_u32 s8, s19, s9
	v_add_co_u32 v1, s2, s2, v3
	v_add_co_ci_u32_e64 v2, null, s8, 0, s2
	s_ashr_i32 s25, s24, 31
	s_lshl_b32 s10, s18, 3
	s_lshl_b64 s[8:9], s[24:25], 3
.LBB11_8:                               ; =>This Inner Loop Header: Depth=1
	global_load_dwordx2 v[5:6], v[1:2], off
	v_add_nc_u32_e32 v4, -1, v4
	v_add_co_u32 v1, vcc_lo, v1, s8
	v_add_co_ci_u32_e64 v2, null, s9, v2, vcc_lo
	v_cmp_eq_u32_e64 s2, 0, v4
	s_or_b32 s11, s2, s11
	s_waitcnt vmcnt(0)
	ds_write_b64 v3, v[5:6]
	v_add_nc_u32_e32 v3, s10, v3
	s_andn2_b32 exec_lo, exec_lo, s11
	s_cbranch_execnz .LBB11_8
.LBB11_9:
	s_or_b32 exec_lo, exec_lo, s3
	s_waitcnt lgkmcnt(0)
	s_barrier
	buffer_gl0_inv
                                        ; implicit-def: $vgpr1
	s_and_saveexec_b32 s2, s1
	s_xor_b32 s1, exec_lo, s2
; %bb.10:
	v_mad_u64_u32 v[1:2], null, v0, s18, v[0:1]
; %bb.11:
	s_andn2_saveexec_b32 s2, s1
	s_cbranch_execz .LBB11_24
; %bb.12:
	v_mad_u64_u32 v[1:2], null, v0, s18, v[0:1]
	s_cmpk_lg_i32 s17, 0x84
	s_mov_b32 s1, -1
	v_lshlrev_b32_e32 v6, 3, v1
	s_cbranch_scc0 .LBB11_22
; %bb.13:
	ds_read_b64 v[2:3], v6
	s_waitcnt lgkmcnt(0)
	v_cmp_neq_f32_e32 vcc_lo, 0, v2
	v_cmp_neq_f32_e64 s1, 0, v3
	s_or_b32 s1, vcc_lo, s1
	s_and_saveexec_b32 s3, s1
	s_xor_b32 s1, exec_lo, s3
	s_cbranch_execz .LBB11_19
; %bb.14:
	v_cmp_ngt_f32_e64 s3, |v2|, |v3|
                                        ; implicit-def: $vgpr4
	s_and_saveexec_b32 s8, s3
	s_xor_b32 s3, exec_lo, s8
	s_cbranch_execz .LBB11_16
; %bb.15:
	v_div_scale_f32 v4, null, v3, v3, v2
	v_div_scale_f32 v8, vcc_lo, v2, v3, v2
	v_rcp_f32_e32 v5, v4
	v_fma_f32 v7, -v4, v5, 1.0
	v_fmac_f32_e32 v5, v7, v5
	v_mul_f32_e32 v7, v8, v5
	v_fma_f32 v9, -v4, v7, v8
	v_fmac_f32_e32 v7, v9, v5
	v_fma_f32 v4, -v4, v7, v8
	v_div_fmas_f32 v4, v4, v5, v7
	v_div_fixup_f32 v4, v4, v3, v2
	v_fmac_f32_e32 v3, v2, v4
	v_div_scale_f32 v2, null, v3, v3, 1.0
	v_div_scale_f32 v8, vcc_lo, 1.0, v3, 1.0
	v_rcp_f32_e32 v5, v2
	v_fma_f32 v7, -v2, v5, 1.0
	v_fmac_f32_e32 v5, v7, v5
	v_mul_f32_e32 v7, v8, v5
	v_fma_f32 v9, -v2, v7, v8
	v_fmac_f32_e32 v7, v9, v5
	v_fma_f32 v2, -v2, v7, v8
	v_div_fmas_f32 v2, v2, v5, v7
	v_div_fixup_f32 v2, v2, v3, 1.0
	v_mul_f32_e32 v4, v4, v2
	v_xor_b32_e32 v5, 0x80000000, v2
                                        ; implicit-def: $vgpr2_vgpr3
.LBB11_16:
	s_andn2_saveexec_b32 s3, s3
	s_cbranch_execz .LBB11_18
; %bb.17:
	v_div_scale_f32 v4, null, v2, v2, v3
	v_div_scale_f32 v8, vcc_lo, v3, v2, v3
	v_rcp_f32_e32 v5, v4
	v_fma_f32 v7, -v4, v5, 1.0
	v_fmac_f32_e32 v5, v7, v5
	v_mul_f32_e32 v7, v8, v5
	v_fma_f32 v9, -v4, v7, v8
	v_fmac_f32_e32 v7, v9, v5
	v_fma_f32 v4, -v4, v7, v8
	v_div_fmas_f32 v4, v4, v5, v7
	v_div_fixup_f32 v5, v4, v2, v3
	v_fmac_f32_e32 v2, v3, v5
	v_div_scale_f32 v3, null, v2, v2, 1.0
	v_rcp_f32_e32 v4, v3
	v_fma_f32 v7, -v3, v4, 1.0
	v_fmac_f32_e32 v4, v7, v4
	v_div_scale_f32 v7, vcc_lo, 1.0, v2, 1.0
	v_mul_f32_e32 v8, v7, v4
	v_fma_f32 v9, -v3, v8, v7
	v_fmac_f32_e32 v8, v9, v4
	v_fma_f32 v3, -v3, v8, v7
	v_div_fmas_f32 v3, v3, v4, v8
	v_div_fixup_f32 v4, v3, v2, 1.0
	v_mul_f32_e64 v5, v5, -v4
.LBB11_18:
	s_or_b32 exec_lo, exec_lo, s3
	ds_write_b64 v6, v[4:5]
.LBB11_19:
	s_andn2_saveexec_b32 s1, s1
; %bb.20:
	v_mov_b32_e32 v2, 1.0
	v_mov_b32_e32 v3, 0
	ds_write_b64 v6, v[2:3]
; %bb.21:
	s_or_b32 exec_lo, exec_lo, s1
	s_mov_b32 s1, 0
.LBB11_22:
	s_andn2_b32 vcc_lo, exec_lo, s1
	s_cbranch_vccnz .LBB11_24
; %bb.23:
	v_mov_b32_e32 v2, 1.0
	v_mov_b32_e32 v3, 0
	ds_write_b64 v6, v[2:3]
.LBB11_24:
	s_or_b32 exec_lo, exec_lo, s2
	v_lshlrev_b32_e32 v3, 3, v0
	s_lshl_b32 s1, s18, 3
	v_lshlrev_b32_e32 v1, 3, v1
	s_mov_b32 s2, 8
	s_add_i32 s3, s1, 8
	v_add_nc_u32_e32 v2, s1, v3
	s_mov_b32 s8, 0
	s_waitcnt lgkmcnt(0)
	s_barrier
	buffer_gl0_inv
	s_branch .LBB11_26
.LBB11_25:                              ;   in Loop: Header=BB11_26 Depth=1
	s_inst_prefetch 0x2
	v_add_nc_u32_e32 v2, s1, v2
	s_add_i32 s2, s2, s3
	s_cmp_eq_u32 s8, s18
	s_barrier
	buffer_gl0_inv
	s_cbranch_scc1 .LBB11_35
.LBB11_26:                              ; =>This Loop Header: Depth=1
                                        ;     Child Loop BB11_31 Depth 2
	v_mov_b32_e32 v4, 0
	v_mov_b32_e32 v5, 0
	s_mul_i32 s9, s8, s18
	s_mov_b32 s10, exec_lo
	v_cmpx_lt_u32_e64 s8, v0
	s_cbranch_execz .LBB11_28
; %bb.27:                               ;   in Loop: Header=BB11_26 Depth=1
	s_lshl_b32 s11, s9, 3
	s_lshl_b32 s17, s8, 3
	v_add_nc_u32_e32 v4, s11, v3
	s_add_i32 s17, s17, s11
	v_mov_b32_e32 v6, s17
	ds_read_b64 v[4:5], v4
	ds_read_b64 v[6:7], v6
	s_waitcnt lgkmcnt(0)
	v_mul_f32_e32 v8, v7, v5
	v_mul_f32_e32 v5, v6, v5
	v_fma_f32 v6, v6, v4, -v8
	v_fmac_f32_e32 v5, v7, v4
	v_add_f32_e32 v4, 0, v6
	v_add_f32_e32 v5, 0, v5
.LBB11_28:                              ;   in Loop: Header=BB11_26 Depth=1
	s_or_b32 exec_lo, exec_lo, s10
	s_add_i32 s8, s8, 1
	s_cmp_ge_i32 s8, s18
	s_barrier
	buffer_gl0_inv
	s_cbranch_scc1 .LBB11_25
; %bb.29:                               ;   in Loop: Header=BB11_26 Depth=1
	v_lshl_add_u32 v6, s9, 3, v3
	v_mov_b32_e32 v7, v2
	s_mov_b32 s9, s2
	s_mov_b32 s10, s8
	s_inst_prefetch 0x1
	s_branch .LBB11_31
	.p2align	6
.LBB11_30:                              ;   in Loop: Header=BB11_31 Depth=2
	s_or_b32 exec_lo, exec_lo, s11
	v_add_nc_u32_e32 v7, s1, v7
	s_add_i32 s10, s10, 1
	s_add_i32 s9, s9, 8
	s_cmp_eq_u32 s18, s10
	s_barrier
	buffer_gl0_inv
	s_cbranch_scc1 .LBB11_25
.LBB11_31:                              ;   Parent Loop BB11_26 Depth=1
                                        ; =>  This Inner Loop Header: Depth=2
	s_mov_b32 s11, exec_lo
	v_cmpx_eq_u32_e64 s10, v0
	s_cbranch_execz .LBB11_33
; %bb.32:                               ;   in Loop: Header=BB11_31 Depth=2
	ds_read_b64 v[8:9], v1
	v_sub_f32_e32 v11, 0, v4
	s_waitcnt lgkmcnt(0)
	v_mul_f32_e32 v10, v5, v9
	v_mul_f32_e32 v12, v5, v8
	v_fmac_f32_e32 v10, v11, v8
	v_fma_f32 v11, -v4, v9, -v12
	ds_write_b64 v6, v[10:11]
.LBB11_33:                              ;   in Loop: Header=BB11_31 Depth=2
	s_or_b32 exec_lo, exec_lo, s11
	s_mov_b32 s11, exec_lo
	s_waitcnt lgkmcnt(0)
	s_barrier
	buffer_gl0_inv
	v_cmpx_lt_u32_e64 s10, v0
	s_cbranch_execz .LBB11_30
; %bb.34:                               ;   in Loop: Header=BB11_31 Depth=2
	v_mov_b32_e32 v10, s9
	ds_read_b64 v[8:9], v7
	ds_read_b64 v[10:11], v10
	s_waitcnt lgkmcnt(0)
	v_mul_f32_e32 v12, v11, v9
	v_mul_f32_e32 v9, v10, v9
	v_fma_f32 v10, v10, v8, -v12
	v_fmac_f32_e32 v9, v11, v8
	v_add_f32_e32 v4, v4, v10
	v_add_f32_e32 v5, v5, v9
	s_branch .LBB11_30
.LBB11_35:
	s_and_saveexec_b32 s2, s0
	s_cbranch_execz .LBB11_43
; %bb.36:
	s_clause 0x1
	s_load_dwordx4 s[8:11], s[4:5], 0x50
	s_load_dword s2, s[4:5], 0x48
	s_waitcnt lgkmcnt(0)
	s_mul_i32 s0, s9, s7
	s_mul_hi_u32 s3, s8, s7
	s_mul_i32 s4, s8, s7
	s_mul_i32 s7, s11, s6
	s_mul_hi_u32 s8, s10, s6
	s_add_i32 s5, s3, s0
	s_add_i32 s7, s8, s7
	s_mul_i32 s6, s10, s6
	s_cmpk_lg_i32 s16, 0x7a
	s_mov_b32 s0, -1
	s_cbranch_scc0 .LBB11_40
; %bb.37:
	s_add_i32 s0, s18, -1
	s_lshl_b64 s[8:9], s[6:7], 3
	s_lshl_b64 s[10:11], s[4:5], 3
	s_ashr_i32 s3, s2, 31
	s_add_u32 s10, s8, s10
	s_mul_i32 s8, s3, s0
	s_mul_hi_u32 s16, s2, s0
	s_addc_u32 s11, s9, s11
	s_add_i32 s9, s16, s8
	s_mul_i32 s8, s2, s0
	v_sub_nc_u32_e32 v1, s0, v0
	s_lshl_b64 s[8:9], s[8:9], 3
	s_add_u32 s0, s10, s8
	s_addc_u32 s10, s11, s9
	s_lshl_b64 s[8:9], s[14:15], 3
	v_lshlrev_b32_e32 v4, 3, v1
	v_lshlrev_b32_e32 v1, 3, v0
	s_add_u32 s0, s0, s8
	s_addc_u32 s8, s10, s9
	s_add_u32 s0, s12, s0
	s_addc_u32 s10, s13, s8
	v_add_co_u32 v1, s0, s0, v1
	s_lshl_b64 s[8:9], s[2:3], 3
	v_add_co_ci_u32_e64 v2, null, s10, 0, s0
	s_sub_u32 s3, 0, s8
	s_subb_u32 s9, 0, s9
	s_mov_b32 s8, 0
.LBB11_38:                              ; =>This Inner Loop Header: Depth=1
	ds_read_b64 v[5:6], v4
	s_add_i32 s18, s18, -1
	v_add_nc_u32_e32 v4, s1, v4
	v_cmp_le_u32_e32 vcc_lo, s18, v0
	s_or_b32 s8, vcc_lo, s8
	s_waitcnt lgkmcnt(0)
	global_store_dwordx2 v[1:2], v[5:6], off
	v_add_co_u32 v1, s0, v1, s3
	v_add_co_ci_u32_e64 v2, null, s9, v2, s0
	s_andn2_b32 exec_lo, exec_lo, s8
	s_cbranch_execnz .LBB11_38
; %bb.39:
	s_or_b32 exec_lo, exec_lo, s8
	s_mov_b32 s0, 0
.LBB11_40:
	s_and_b32 vcc_lo, exec_lo, s0
	s_cbranch_vccz .LBB11_43
; %bb.41:
	s_lshl_b64 s[4:5], s[4:5], 3
	v_lshlrev_b32_e32 v1, 3, v0
	s_add_u32 s0, s12, s4
	s_addc_u32 s3, s13, s5
	s_lshl_b64 s[4:5], s[14:15], 3
	v_add_nc_u32_e32 v0, 1, v0
	s_add_u32 s0, s0, s4
	s_addc_u32 s3, s3, s5
	s_lshl_b64 s[4:5], s[6:7], 3
	s_add_u32 s0, s0, s4
	s_addc_u32 s4, s3, s5
	v_add_co_u32 v1, s0, s0, v1
	v_add_co_ci_u32_e64 v2, null, s4, 0, s0
	s_ashr_i32 s3, s2, 31
	s_mov_b32 s4, 0
	s_lshl_b64 s[2:3], s[2:3], 3
.LBB11_42:                              ; =>This Inner Loop Header: Depth=1
	ds_read_b64 v[4:5], v3
	v_add_nc_u32_e32 v0, -1, v0
	v_add_nc_u32_e32 v3, s1, v3
	v_cmp_eq_u32_e32 vcc_lo, 0, v0
	s_or_b32 s4, vcc_lo, s4
	s_waitcnt lgkmcnt(0)
	global_store_dwordx2 v[1:2], v[4:5], off
	v_add_co_u32 v1, s0, v1, s2
	v_add_co_ci_u32_e64 v2, null, s3, v2, s0
	s_andn2_b32 exec_lo, exec_lo, s4
	s_cbranch_execnz .LBB11_42
.LBB11_43:
	s_endpgm
	.section	.rodata,"a",@progbits
	.p2align	6, 0x0
	.amdhsa_kernel _ZL30rocblas_trtri_remainder_kernelILi16E19rocblas_complex_numIfEPKS1_PS1_Ev13rocblas_fill_17rocblas_diagonal_iT1_lillT2_lilli
		.amdhsa_group_segment_fixed_size 8192
		.amdhsa_private_segment_fixed_size 0
		.amdhsa_kernarg_size 100
		.amdhsa_user_sgpr_count 6
		.amdhsa_user_sgpr_private_segment_buffer 1
		.amdhsa_user_sgpr_dispatch_ptr 0
		.amdhsa_user_sgpr_queue_ptr 0
		.amdhsa_user_sgpr_kernarg_segment_ptr 1
		.amdhsa_user_sgpr_dispatch_id 0
		.amdhsa_user_sgpr_flat_scratch_init 0
		.amdhsa_user_sgpr_private_segment_size 0
		.amdhsa_wavefront_size32 1
		.amdhsa_uses_dynamic_stack 0
		.amdhsa_system_sgpr_private_segment_wavefront_offset 0
		.amdhsa_system_sgpr_workgroup_id_x 1
		.amdhsa_system_sgpr_workgroup_id_y 0
		.amdhsa_system_sgpr_workgroup_id_z 1
		.amdhsa_system_sgpr_workgroup_info 0
		.amdhsa_system_vgpr_workitem_id 0
		.amdhsa_next_free_vgpr 13
		.amdhsa_next_free_sgpr 31
		.amdhsa_reserve_vcc 1
		.amdhsa_reserve_flat_scratch 0
		.amdhsa_float_round_mode_32 0
		.amdhsa_float_round_mode_16_64 0
		.amdhsa_float_denorm_mode_32 3
		.amdhsa_float_denorm_mode_16_64 3
		.amdhsa_dx10_clamp 1
		.amdhsa_ieee_mode 1
		.amdhsa_fp16_overflow 0
		.amdhsa_workgroup_processor_mode 1
		.amdhsa_memory_ordered 1
		.amdhsa_forward_progress 1
		.amdhsa_shared_vgpr_count 0
		.amdhsa_exception_fp_ieee_invalid_op 0
		.amdhsa_exception_fp_denorm_src 0
		.amdhsa_exception_fp_ieee_div_zero 0
		.amdhsa_exception_fp_ieee_overflow 0
		.amdhsa_exception_fp_ieee_underflow 0
		.amdhsa_exception_fp_ieee_inexact 0
		.amdhsa_exception_int_div_zero 0
	.end_amdhsa_kernel
	.section	.text._ZL30rocblas_trtri_remainder_kernelILi16E19rocblas_complex_numIfEPKS1_PS1_Ev13rocblas_fill_17rocblas_diagonal_iT1_lillT2_lilli,"axG",@progbits,_ZL30rocblas_trtri_remainder_kernelILi16E19rocblas_complex_numIfEPKS1_PS1_Ev13rocblas_fill_17rocblas_diagonal_iT1_lillT2_lilli,comdat
.Lfunc_end11:
	.size	_ZL30rocblas_trtri_remainder_kernelILi16E19rocblas_complex_numIfEPKS1_PS1_Ev13rocblas_fill_17rocblas_diagonal_iT1_lillT2_lilli, .Lfunc_end11-_ZL30rocblas_trtri_remainder_kernelILi16E19rocblas_complex_numIfEPKS1_PS1_Ev13rocblas_fill_17rocblas_diagonal_iT1_lillT2_lilli
                                        ; -- End function
	.set _ZL30rocblas_trtri_remainder_kernelILi16E19rocblas_complex_numIfEPKS1_PS1_Ev13rocblas_fill_17rocblas_diagonal_iT1_lillT2_lilli.num_vgpr, 13
	.set _ZL30rocblas_trtri_remainder_kernelILi16E19rocblas_complex_numIfEPKS1_PS1_Ev13rocblas_fill_17rocblas_diagonal_iT1_lillT2_lilli.num_agpr, 0
	.set _ZL30rocblas_trtri_remainder_kernelILi16E19rocblas_complex_numIfEPKS1_PS1_Ev13rocblas_fill_17rocblas_diagonal_iT1_lillT2_lilli.numbered_sgpr, 31
	.set _ZL30rocblas_trtri_remainder_kernelILi16E19rocblas_complex_numIfEPKS1_PS1_Ev13rocblas_fill_17rocblas_diagonal_iT1_lillT2_lilli.num_named_barrier, 0
	.set _ZL30rocblas_trtri_remainder_kernelILi16E19rocblas_complex_numIfEPKS1_PS1_Ev13rocblas_fill_17rocblas_diagonal_iT1_lillT2_lilli.private_seg_size, 0
	.set _ZL30rocblas_trtri_remainder_kernelILi16E19rocblas_complex_numIfEPKS1_PS1_Ev13rocblas_fill_17rocblas_diagonal_iT1_lillT2_lilli.uses_vcc, 1
	.set _ZL30rocblas_trtri_remainder_kernelILi16E19rocblas_complex_numIfEPKS1_PS1_Ev13rocblas_fill_17rocblas_diagonal_iT1_lillT2_lilli.uses_flat_scratch, 0
	.set _ZL30rocblas_trtri_remainder_kernelILi16E19rocblas_complex_numIfEPKS1_PS1_Ev13rocblas_fill_17rocblas_diagonal_iT1_lillT2_lilli.has_dyn_sized_stack, 0
	.set _ZL30rocblas_trtri_remainder_kernelILi16E19rocblas_complex_numIfEPKS1_PS1_Ev13rocblas_fill_17rocblas_diagonal_iT1_lillT2_lilli.has_recursion, 0
	.set _ZL30rocblas_trtri_remainder_kernelILi16E19rocblas_complex_numIfEPKS1_PS1_Ev13rocblas_fill_17rocblas_diagonal_iT1_lillT2_lilli.has_indirect_call, 0
	.section	.AMDGPU.csdata,"",@progbits
; Kernel info:
; codeLenInByte = 1808
; TotalNumSgprs: 33
; NumVgprs: 13
; ScratchSize: 0
; MemoryBound: 0
; FloatMode: 240
; IeeeMode: 1
; LDSByteSize: 8192 bytes/workgroup (compile time only)
; SGPRBlocks: 0
; VGPRBlocks: 1
; NumSGPRsForWavesPerEU: 33
; NumVGPRsForWavesPerEU: 13
; Occupancy: 16
; WaveLimiterHint : 0
; COMPUTE_PGM_RSRC2:SCRATCH_EN: 0
; COMPUTE_PGM_RSRC2:USER_SGPR: 6
; COMPUTE_PGM_RSRC2:TRAP_HANDLER: 0
; COMPUTE_PGM_RSRC2:TGID_X_EN: 1
; COMPUTE_PGM_RSRC2:TGID_Y_EN: 0
; COMPUTE_PGM_RSRC2:TGID_Z_EN: 1
; COMPUTE_PGM_RSRC2:TIDIG_COMP_CNT: 0
	.section	.text._ZL18rocblas_trtri_fillILi128E19rocblas_complex_numIdEPS1_EvP15_rocblas_handle13rocblas_fill_ililT1_llii,"axG",@progbits,_ZL18rocblas_trtri_fillILi128E19rocblas_complex_numIdEPS1_EvP15_rocblas_handle13rocblas_fill_ililT1_llii,comdat
	.globl	_ZL18rocblas_trtri_fillILi128E19rocblas_complex_numIdEPS1_EvP15_rocblas_handle13rocblas_fill_ililT1_llii ; -- Begin function _ZL18rocblas_trtri_fillILi128E19rocblas_complex_numIdEPS1_EvP15_rocblas_handle13rocblas_fill_ililT1_llii
	.p2align	8
	.type	_ZL18rocblas_trtri_fillILi128E19rocblas_complex_numIdEPS1_EvP15_rocblas_handle13rocblas_fill_ililT1_llii,@function
_ZL18rocblas_trtri_fillILi128E19rocblas_complex_numIdEPS1_EvP15_rocblas_handle13rocblas_fill_ililT1_llii: ; @_ZL18rocblas_trtri_fillILi128E19rocblas_complex_numIdEPS1_EvP15_rocblas_handle13rocblas_fill_ililT1_llii
; %bb.0:
	s_clause 0x1
	s_load_dword s1, s[4:5], 0x40
	s_load_dwordx2 s[2:3], s[4:5], 0x10
	s_mov_b32 s0, s7
	s_mov_b32 s7, 0
	s_lshl_b64 s[8:9], s[6:7], 7
	v_or_b32_e32 v0, s8, v0
	v_mov_b32_e32 v1, s9
	s_waitcnt lgkmcnt(0)
	s_ashr_i32 s6, s1, 31
	s_mul_hi_u32 s8, s2, s1
	s_mul_i32 s6, s2, s6
	s_mul_i32 s9, s3, s1
	s_add_i32 s6, s8, s6
	s_mul_i32 s16, s2, s1
	s_add_i32 s17, s6, s9
	s_mov_b32 s1, exec_lo
	v_cmpx_gt_u64_e64 s[16:17], v[0:1]
	s_cbranch_execz .LBB12_16
; %bb.1:
	s_clause 0x2
	s_load_dwordx8 s[8:15], s[4:5], 0x20
	s_load_dword s18, s[4:5], 0x18
	s_load_dwordx2 s[20:21], s[4:5], 0x8
	v_cvt_f32_u32_e32 v2, s2
	v_cvt_f32_u32_e32 v3, s2
	;; [unrolled: 1-line block ×3, first 2 shown]
	s_clause 0x1
	s_load_dword s22, s[4:5], 0x48
	s_load_dword s23, s[4:5], 0x54
	v_rcp_iflag_f32_e32 v2, v2
	v_fmamk_f32 v3, v4, 0x4f800000, v3
	v_rcp_f32_e32 v3, v3
	v_mul_f32_e32 v2, 0x4f7ffffe, v2
	s_waitcnt lgkmcnt(0)
	s_mul_i32 s1, s15, s0
	s_mul_hi_u32 s4, s14, s0
	s_mul_i32 s0, s14, s0
	s_add_i32 s1, s4, s1
	s_ashr_i32 s19, s18, 31
	s_lshl_b64 s[0:1], s[0:1], 4
	v_cvt_u32_f32_e32 v5, v2
	s_add_u32 s0, s10, s0
	s_addc_u32 s6, s11, s1
	s_lshl_b64 s[4:5], s[12:13], 4
	v_mul_f32_e32 v4, 0x5f7ffffc, v3
	s_add_u32 s1, s0, s4
	s_addc_u32 s6, s6, s5
	s_add_i32 s0, s21, -1
	s_add_i32 s11, s21, -2
	s_mul_hi_i32 s5, s0, s21
	s_mul_i32 s4, s0, s21
	s_ashr_i32 s10, s21, 31
	s_lshl_b64 s[12:13], s[4:5], 2
	v_cvt_f64_i32_e32 v[2:3], s11
	s_add_u32 s11, s12, -7
	s_addc_u32 s12, s13, -1
	s_sub_i32 s0, 0, s2
	v_mul_f32_e32 v6, 0x2f800000, v4
	v_mul_lo_u32 v7, s0, v5
	s_and_b32 s0, s23, 0xffff
	s_mov_b32 s13, s21
	s_lshr_b64 s[4:5], s[4:5], 1
	v_trunc_f32_e32 v6, v6
	s_mul_hi_u32 s14, s0, s22
	s_mul_i32 s15, s0, s22
	v_mul_hi_u32 v7, v5, v7
	v_fmamk_f32 v8, v6, 0xcf800000, v4
	v_mov_b32_e32 v4, 0
	v_cvt_u32_f32_e32 v13, v6
	v_cvt_u32_f32_e32 v12, v8
	v_add_nc_u32_e32 v14, v5, v7
	s_branch .LBB12_3
.LBB12_2:                               ;   in Loop: Header=BB12_3 Depth=1
	v_add_co_u32 v0, vcc_lo, v0, s15
	v_add_co_ci_u32_e64 v1, null, s14, v1, vcc_lo
	v_cmp_le_u64_e32 vcc_lo, s[16:17], v[0:1]
	s_or_b32 s7, vcc_lo, s7
	s_andn2_b32 exec_lo, exec_lo, s7
	s_cbranch_execz .LBB12_16
.LBB12_3:                               ; =>This Inner Loop Header: Depth=1
	v_or_b32_e32 v5, s3, v1
                                        ; implicit-def: $vgpr6_vgpr7
	s_mov_b32 s0, exec_lo
	v_cmpx_ne_u64_e32 0, v[4:5]
	s_xor_b32 s21, exec_lo, s0
	s_cbranch_execz .LBB12_5
; %bb.4:                                ;   in Loop: Header=BB12_3 Depth=1
	v_readfirstlane_b32 s0, v12
	v_readfirstlane_b32 s22, v13
	s_sub_u32 s23, 0, s2
	s_subb_u32 s24, 0, s3
	s_mul_hi_u32 s25, s23, s0
	s_mul_i32 s26, s23, s22
	s_mul_i32 s27, s24, s0
	s_add_i32 s25, s25, s26
	s_mul_i32 s26, s23, s0
	s_add_i32 s25, s25, s27
	s_mul_hi_u32 s27, s0, s26
	s_mul_i32 s28, s0, s25
	s_mul_hi_u32 s29, s0, s25
	s_add_u32 s27, s27, s28
	s_mul_i32 s30, s22, s26
	s_addc_u32 s28, 0, s29
	s_mul_hi_u32 s26, s22, s26
	s_mul_hi_u32 s29, s22, s25
	s_add_u32 s27, s27, s30
	s_addc_u32 s26, s28, s26
	s_mul_i32 s25, s22, s25
	s_addc_u32 s27, s29, 0
	s_add_u32 s25, s26, s25
	s_addc_u32 s26, 0, s27
	s_add_u32 s0, s0, s25
	s_cselect_b32 s25, -1, 0
	s_mul_i32 s24, s24, s0
	s_cmp_lg_u32 s25, 0
	s_addc_u32 s22, s22, s26
	s_mul_hi_u32 s26, s23, s0
	s_mul_i32 s25, s23, s22
	s_mul_i32 s23, s23, s0
	s_add_i32 s25, s26, s25
	s_mul_hi_u32 s26, s22, s23
	s_add_i32 s25, s25, s24
	s_mul_i32 s27, s22, s23
	s_mul_i32 s28, s0, s25
	s_mul_hi_u32 s23, s0, s23
	s_mul_hi_u32 s29, s0, s25
	s_add_u32 s23, s23, s28
	s_addc_u32 s28, 0, s29
	s_mul_hi_u32 s24, s22, s25
	s_add_u32 s23, s23, s27
	s_addc_u32 s23, s28, s26
	s_mul_i32 s25, s22, s25
	s_addc_u32 s24, s24, 0
	s_add_u32 s23, s23, s25
	s_addc_u32 s24, 0, s24
	s_add_u32 s0, s0, s23
	s_cselect_b32 s23, -1, 0
	v_mul_hi_u32 v9, v0, s0
	s_cmp_lg_u32 s23, 0
	v_mad_u64_u32 v[7:8], null, v1, s0, 0
	s_addc_u32 s22, s22, s24
	v_mad_u64_u32 v[5:6], null, v0, s22, 0
	v_add_co_u32 v9, vcc_lo, v9, v5
	v_add_co_ci_u32_e64 v10, null, 0, v6, vcc_lo
	v_mad_u64_u32 v[5:6], null, v1, s22, 0
	v_add_co_u32 v7, vcc_lo, v9, v7
	v_add_co_ci_u32_e32 v7, vcc_lo, v10, v8, vcc_lo
	v_add_co_ci_u32_e32 v6, vcc_lo, 0, v6, vcc_lo
	v_add_co_u32 v8, vcc_lo, v7, v5
	v_add_co_ci_u32_e64 v7, null, 0, v6, vcc_lo
	v_mul_lo_u32 v9, s3, v8
	v_mad_u64_u32 v[5:6], null, s2, v8, 0
	v_mul_lo_u32 v10, s2, v7
	v_sub_co_u32 v5, vcc_lo, v0, v5
	v_add3_u32 v6, v6, v10, v9
	v_add_co_u32 v10, s0, v8, 2
	v_add_co_ci_u32_e64 v11, null, 0, v7, s0
	v_sub_nc_u32_e32 v9, v1, v6
	v_sub_co_u32 v15, s0, v5, s2
	v_sub_co_ci_u32_e64 v6, null, v1, v6, vcc_lo
	v_subrev_co_ci_u32_e64 v9, null, s3, v9, vcc_lo
	v_cmp_le_u32_e32 vcc_lo, s2, v15
	v_subrev_co_ci_u32_e64 v9, null, 0, v9, s0
	v_cndmask_b32_e64 v15, 0, -1, vcc_lo
	v_cmp_eq_u32_e64 s0, s3, v6
	v_cmp_le_u32_e32 vcc_lo, s3, v9
	v_cndmask_b32_e64 v16, 0, -1, vcc_lo
	v_cmp_le_u32_e32 vcc_lo, s2, v5
	v_cndmask_b32_e64 v5, 0, -1, vcc_lo
	;; [unrolled: 2-line block ×3, first 2 shown]
	v_cmp_eq_u32_e32 vcc_lo, s3, v9
	v_cndmask_b32_e64 v5, v17, v5, s0
	v_cndmask_b32_e32 v9, v16, v15, vcc_lo
	v_add_co_u32 v15, vcc_lo, v8, 1
	v_add_co_ci_u32_e64 v16, null, 0, v7, vcc_lo
	v_cmp_ne_u32_e32 vcc_lo, 0, v9
	v_cndmask_b32_e32 v6, v16, v11, vcc_lo
	v_cndmask_b32_e32 v9, v15, v10, vcc_lo
	v_cmp_ne_u32_e32 vcc_lo, 0, v5
	v_cndmask_b32_e32 v7, v7, v6, vcc_lo
	v_cndmask_b32_e32 v6, v8, v9, vcc_lo
.LBB12_5:                               ;   in Loop: Header=BB12_3 Depth=1
	s_andn2_saveexec_b32 s0, s21
	s_cbranch_execz .LBB12_7
; %bb.6:                                ;   in Loop: Header=BB12_3 Depth=1
	v_mul_hi_u32 v5, v0, v14
	v_mul_lo_u32 v6, v5, s2
	v_add_nc_u32_e32 v7, 1, v5
	v_sub_nc_u32_e32 v6, v0, v6
	v_subrev_nc_u32_e32 v8, s2, v6
	v_cmp_le_u32_e32 vcc_lo, s2, v6
	v_cndmask_b32_e32 v6, v6, v8, vcc_lo
	v_cndmask_b32_e32 v5, v5, v7, vcc_lo
	v_cmp_le_u32_e32 vcc_lo, s2, v6
	v_add_nc_u32_e32 v7, 1, v5
	v_cndmask_b32_e32 v6, v5, v7, vcc_lo
	v_mov_b32_e32 v7, v4
.LBB12_7:                               ;   in Loop: Header=BB12_3 Depth=1
	s_or_b32 exec_lo, exec_lo, s0
	v_mul_lo_u32 v5, v7, s2
	v_mul_lo_u32 v10, v6, s3
	v_mad_u64_u32 v[8:9], null, v6, s2, 0
	s_cmpk_lt_i32 s20, 0x7a
	v_add3_u32 v5, v9, v10, v5
	v_sub_co_u32 v8, vcc_lo, v0, v8
	v_sub_co_ci_u32_e64 v9, null, v1, v5, vcc_lo
	s_cbranch_scc1 .LBB12_10
; %bb.8:                                ;   in Loop: Header=BB12_3 Depth=1
	s_mov_b32 s0, 0
	s_cmpk_eq_i32 s20, 0x7a
	s_mov_b32 s21, 0
                                        ; implicit-def: $vgpr10_vgpr11
	s_cbranch_scc0 .LBB12_11
; %bb.9:                                ;   in Loop: Header=BB12_3 Depth=1
	v_lshlrev_b64 v[10:11], 3, v[8:9]
	s_mov_b32 s21, -1
	v_sub_co_u32 v5, vcc_lo, s11, v10
	v_sub_co_ci_u32_e64 v10, null, s12, v11, vcc_lo
	v_cvt_f64_u32_e32 v[15:16], v5
	v_cvt_f64_u32_e32 v[10:11], v10
	v_ldexp_f64 v[10:11], v[10:11], 32
	v_add_f64 v[10:11], v[10:11], v[15:16]
	v_cmp_gt_f64_e32 vcc_lo, 0x10000000, v[10:11]
	v_cndmask_b32_e64 v5, 0, 0x100, vcc_lo
	v_ldexp_f64 v[10:11], v[10:11], v5
	v_cndmask_b32_e64 v5, 0, 0xffffff80, vcc_lo
	v_rsq_f64_e32 v[15:16], v[10:11]
	v_cmp_class_f64_e64 vcc_lo, v[10:11], 0x260
	v_mul_f64 v[17:18], v[10:11], v[15:16]
	v_mul_f64 v[15:16], v[15:16], 0.5
	v_fma_f64 v[19:20], -v[15:16], v[17:18], 0.5
	v_fma_f64 v[17:18], v[17:18], v[19:20], v[17:18]
	v_fma_f64 v[15:16], v[15:16], v[19:20], v[15:16]
	v_fma_f64 v[19:20], -v[17:18], v[17:18], v[10:11]
	v_fma_f64 v[17:18], v[19:20], v[15:16], v[17:18]
	v_fma_f64 v[19:20], -v[17:18], v[17:18], v[10:11]
	v_fma_f64 v[15:16], v[19:20], v[15:16], v[17:18]
	v_mul_lo_u32 v17, v6, s9
	v_ldexp_f64 v[15:16], v[15:16], v5
	v_mul_lo_u32 v5, v7, s8
	v_cndmask_b32_e32 v11, v16, v11, vcc_lo
	v_cndmask_b32_e32 v10, v15, v10, vcc_lo
	v_fma_f64 v[10:11], v[10:11], 0.5, -0.5
	v_floor_f64_e32 v[10:11], v[10:11]
	v_add_f64 v[10:11], v[2:3], -v[10:11]
	v_trunc_f64_e32 v[10:11], v[10:11]
	v_ldexp_f64 v[15:16], v[10:11], 0xffffffe0
	v_floor_f64_e32 v[15:16], v[15:16]
	v_fma_f64 v[10:11], 0xc1f00000, v[15:16], v[10:11]
	v_cvt_u32_f64_e32 v16, v[15:16]
	v_cvt_u32_f64_e32 v15, v[10:11]
	v_mad_u64_u32 v[10:11], null, v6, s8, 0
	v_add3_u32 v11, v11, v17, v5
	v_mul_lo_u32 v5, v16, s18
	v_lshlrev_b64 v[10:11], 4, v[10:11]
	v_sub_co_u32 v21, vcc_lo, s13, v15
	v_sub_co_ci_u32_e64 v22, null, s10, v16, vcc_lo
	v_mul_lo_u32 v23, v15, s19
	v_mad_u64_u32 v[17:18], null, v15, s18, 0
	v_add_co_u32 v24, vcc_lo, v21, -1
	v_add_co_ci_u32_e64 v25, null, -1, v22, vcc_lo
	v_sub_co_u32 v19, vcc_lo, v8, s4
	v_add3_u32 v18, v18, v23, v5
	v_mul_lo_u32 v5, v25, v21
	v_mul_lo_u32 v23, v24, v22
	v_mad_u64_u32 v[21:22], null, v24, v21, 0
	v_subrev_co_ci_u32_e64 v20, null, s5, v9, vcc_lo
	v_lshlrev_b64 v[17:18], 4, v[17:18]
	v_add_co_u32 v10, vcc_lo, s1, v10
	v_add_co_ci_u32_e64 v11, null, s6, v11, vcc_lo
	v_lshlrev_b64 v[19:20], 4, v[19:20]
	v_add3_u32 v22, v22, v23, v5
	v_add_co_u32 v5, vcc_lo, v10, v17
	v_add_co_ci_u32_e64 v17, null, v11, v18, vcc_lo
	v_lshlrev_b64 v[10:11], 3, v[21:22]
	v_lshlrev_b64 v[15:16], 4, v[15:16]
	v_add_co_u32 v5, vcc_lo, v5, v19
	v_add_co_ci_u32_e64 v17, null, v17, v20, vcc_lo
	v_and_b32_e32 v10, -16, v10
	v_add_co_u32 v5, vcc_lo, v5, v15
	v_add_co_ci_u32_e64 v16, null, v17, v16, vcc_lo
	v_add_co_u32 v15, vcc_lo, v5, v10
	v_add_co_ci_u32_e64 v16, null, v16, v11, vcc_lo
	v_mov_b32_e32 v5, v4
	v_add_co_u32 v10, vcc_lo, v15, 16
	v_add_co_ci_u32_e64 v11, null, 0, v16, vcc_lo
	global_store_dwordx2 v[15:16], v[4:5], off offset:16
	s_branch .LBB12_11
.LBB12_10:                              ;   in Loop: Header=BB12_3 Depth=1
	s_mov_b32 s0, -1
	s_mov_b32 s21, 0
                                        ; implicit-def: $vgpr10_vgpr11
.LBB12_11:                              ;   in Loop: Header=BB12_3 Depth=1
	s_and_b32 vcc_lo, exec_lo, s0
	s_cbranch_vccz .LBB12_14
; %bb.12:                               ;   in Loop: Header=BB12_3 Depth=1
	s_cmpk_eq_i32 s20, 0x79
                                        ; implicit-def: $vgpr10_vgpr11
	s_cbranch_scc0 .LBB12_14
; %bb.13:                               ;   in Loop: Header=BB12_3 Depth=1
	v_lshlrev_b64 v[10:11], 3, v[8:9]
	v_mul_lo_u32 v7, v7, s8
	s_mov_b32 s21, -1
	v_cvt_f64_u32_e32 v[15:16], v11
	v_or_b32_e32 v5, 1, v10
	v_cvt_f64_u32_e32 v[10:11], v5
	v_ldexp_f64 v[15:16], v[15:16], 32
	v_add_f64 v[10:11], v[15:16], v[10:11]
	v_cmp_gt_f64_e32 vcc_lo, 0x10000000, v[10:11]
	v_cndmask_b32_e64 v5, 0, 0x100, vcc_lo
	v_ldexp_f64 v[10:11], v[10:11], v5
	v_cndmask_b32_e64 v5, 0, 0xffffff80, vcc_lo
	v_rsq_f64_e32 v[15:16], v[10:11]
	v_cmp_class_f64_e64 vcc_lo, v[10:11], 0x260
	v_mul_f64 v[17:18], v[10:11], v[15:16]
	v_mul_f64 v[15:16], v[15:16], 0.5
	v_fma_f64 v[19:20], -v[15:16], v[17:18], 0.5
	v_fma_f64 v[17:18], v[17:18], v[19:20], v[17:18]
	v_fma_f64 v[15:16], v[15:16], v[19:20], v[15:16]
	v_fma_f64 v[19:20], -v[17:18], v[17:18], v[10:11]
	v_fma_f64 v[17:18], v[19:20], v[15:16], v[17:18]
	v_fma_f64 v[19:20], -v[17:18], v[17:18], v[10:11]
	v_fma_f64 v[15:16], v[19:20], v[15:16], v[17:18]
	v_mul_lo_u32 v17, v6, s9
	v_ldexp_f64 v[15:16], v[15:16], v5
	v_mad_u64_u32 v[5:6], null, v6, s8, 0
	v_add3_u32 v6, v6, v17, v7
	v_lshlrev_b64 v[5:6], 4, v[5:6]
	v_cndmask_b32_e32 v11, v16, v11, vcc_lo
	v_cndmask_b32_e32 v10, v15, v10, vcc_lo
	v_add_f64 v[10:11], v[10:11], -1.0
	v_mul_f64 v[10:11], v[10:11], 0.5
	v_trunc_f64_e32 v[10:11], v[10:11]
	v_ldexp_f64 v[15:16], v[10:11], 0xffffffe0
	v_floor_f64_e32 v[15:16], v[15:16]
	v_fma_f64 v[10:11], 0xc1f00000, v[15:16], v[10:11]
	v_cvt_u32_f64_e32 v16, v[15:16]
	v_cvt_u32_f64_e32 v15, v[10:11]
	v_mul_lo_u32 v19, s18, v16
	v_mad_u64_u32 v[10:11], null, v15, v15, v[15:16]
	v_mul_lo_u32 v18, v15, v16
	v_mul_lo_u32 v20, s19, v15
	v_mad_u64_u32 v[15:16], null, s18, v15, s[18:19]
	v_add3_u32 v11, v18, v11, v18
	v_add3_u32 v16, v20, v16, v19
	v_lshrrev_b64 v[10:11], 1, v[10:11]
	v_lshlrev_b64 v[15:16], 4, v[15:16]
	v_sub_co_u32 v7, vcc_lo, v8, v10
	v_sub_co_ci_u32_e64 v8, null, v9, v11, vcc_lo
	v_add_co_u32 v9, vcc_lo, s1, v5
	v_add_co_ci_u32_e64 v10, null, s6, v6, vcc_lo
	v_lshlrev_b64 v[5:6], 4, v[7:8]
	v_add_co_u32 v7, vcc_lo, v9, v15
	v_add_co_ci_u32_e64 v8, null, v10, v16, vcc_lo
	v_add_co_u32 v10, vcc_lo, v7, v5
	v_add_co_ci_u32_e64 v11, null, v8, v6, vcc_lo
	v_mov_b32_e32 v5, v4
	global_store_dwordx2 v[10:11], v[4:5], off
.LBB12_14:                              ;   in Loop: Header=BB12_3 Depth=1
	s_and_b32 vcc_lo, exec_lo, s21
	s_cbranch_vccz .LBB12_2
; %bb.15:                               ;   in Loop: Header=BB12_3 Depth=1
	v_mov_b32_e32 v5, v4
	global_store_dwordx2 v[10:11], v[4:5], off offset:8
	s_branch .LBB12_2
.LBB12_16:
	s_endpgm
	.section	.rodata,"a",@progbits
	.p2align	6, 0x0
	.amdhsa_kernel _ZL18rocblas_trtri_fillILi128E19rocblas_complex_numIdEPS1_EvP15_rocblas_handle13rocblas_fill_ililT1_llii
		.amdhsa_group_segment_fixed_size 0
		.amdhsa_private_segment_fixed_size 0
		.amdhsa_kernarg_size 328
		.amdhsa_user_sgpr_count 6
		.amdhsa_user_sgpr_private_segment_buffer 1
		.amdhsa_user_sgpr_dispatch_ptr 0
		.amdhsa_user_sgpr_queue_ptr 0
		.amdhsa_user_sgpr_kernarg_segment_ptr 1
		.amdhsa_user_sgpr_dispatch_id 0
		.amdhsa_user_sgpr_flat_scratch_init 0
		.amdhsa_user_sgpr_private_segment_size 0
		.amdhsa_wavefront_size32 1
		.amdhsa_uses_dynamic_stack 0
		.amdhsa_system_sgpr_private_segment_wavefront_offset 0
		.amdhsa_system_sgpr_workgroup_id_x 1
		.amdhsa_system_sgpr_workgroup_id_y 0
		.amdhsa_system_sgpr_workgroup_id_z 1
		.amdhsa_system_sgpr_workgroup_info 0
		.amdhsa_system_vgpr_workitem_id 0
		.amdhsa_next_free_vgpr 26
		.amdhsa_next_free_sgpr 31
		.amdhsa_reserve_vcc 1
		.amdhsa_reserve_flat_scratch 0
		.amdhsa_float_round_mode_32 0
		.amdhsa_float_round_mode_16_64 0
		.amdhsa_float_denorm_mode_32 3
		.amdhsa_float_denorm_mode_16_64 3
		.amdhsa_dx10_clamp 1
		.amdhsa_ieee_mode 1
		.amdhsa_fp16_overflow 0
		.amdhsa_workgroup_processor_mode 1
		.amdhsa_memory_ordered 1
		.amdhsa_forward_progress 1
		.amdhsa_shared_vgpr_count 0
		.amdhsa_exception_fp_ieee_invalid_op 0
		.amdhsa_exception_fp_denorm_src 0
		.amdhsa_exception_fp_ieee_div_zero 0
		.amdhsa_exception_fp_ieee_overflow 0
		.amdhsa_exception_fp_ieee_underflow 0
		.amdhsa_exception_fp_ieee_inexact 0
		.amdhsa_exception_int_div_zero 0
	.end_amdhsa_kernel
	.section	.text._ZL18rocblas_trtri_fillILi128E19rocblas_complex_numIdEPS1_EvP15_rocblas_handle13rocblas_fill_ililT1_llii,"axG",@progbits,_ZL18rocblas_trtri_fillILi128E19rocblas_complex_numIdEPS1_EvP15_rocblas_handle13rocblas_fill_ililT1_llii,comdat
.Lfunc_end12:
	.size	_ZL18rocblas_trtri_fillILi128E19rocblas_complex_numIdEPS1_EvP15_rocblas_handle13rocblas_fill_ililT1_llii, .Lfunc_end12-_ZL18rocblas_trtri_fillILi128E19rocblas_complex_numIdEPS1_EvP15_rocblas_handle13rocblas_fill_ililT1_llii
                                        ; -- End function
	.set _ZL18rocblas_trtri_fillILi128E19rocblas_complex_numIdEPS1_EvP15_rocblas_handle13rocblas_fill_ililT1_llii.num_vgpr, 26
	.set _ZL18rocblas_trtri_fillILi128E19rocblas_complex_numIdEPS1_EvP15_rocblas_handle13rocblas_fill_ililT1_llii.num_agpr, 0
	.set _ZL18rocblas_trtri_fillILi128E19rocblas_complex_numIdEPS1_EvP15_rocblas_handle13rocblas_fill_ililT1_llii.numbered_sgpr, 31
	.set _ZL18rocblas_trtri_fillILi128E19rocblas_complex_numIdEPS1_EvP15_rocblas_handle13rocblas_fill_ililT1_llii.num_named_barrier, 0
	.set _ZL18rocblas_trtri_fillILi128E19rocblas_complex_numIdEPS1_EvP15_rocblas_handle13rocblas_fill_ililT1_llii.private_seg_size, 0
	.set _ZL18rocblas_trtri_fillILi128E19rocblas_complex_numIdEPS1_EvP15_rocblas_handle13rocblas_fill_ililT1_llii.uses_vcc, 1
	.set _ZL18rocblas_trtri_fillILi128E19rocblas_complex_numIdEPS1_EvP15_rocblas_handle13rocblas_fill_ililT1_llii.uses_flat_scratch, 0
	.set _ZL18rocblas_trtri_fillILi128E19rocblas_complex_numIdEPS1_EvP15_rocblas_handle13rocblas_fill_ililT1_llii.has_dyn_sized_stack, 0
	.set _ZL18rocblas_trtri_fillILi128E19rocblas_complex_numIdEPS1_EvP15_rocblas_handle13rocblas_fill_ililT1_llii.has_recursion, 0
	.set _ZL18rocblas_trtri_fillILi128E19rocblas_complex_numIdEPS1_EvP15_rocblas_handle13rocblas_fill_ililT1_llii.has_indirect_call, 0
	.section	.AMDGPU.csdata,"",@progbits
; Kernel info:
; codeLenInByte = 2080
; TotalNumSgprs: 33
; NumVgprs: 26
; ScratchSize: 0
; MemoryBound: 0
; FloatMode: 240
; IeeeMode: 1
; LDSByteSize: 0 bytes/workgroup (compile time only)
; SGPRBlocks: 0
; VGPRBlocks: 3
; NumSGPRsForWavesPerEU: 33
; NumVGPRsForWavesPerEU: 26
; Occupancy: 16
; WaveLimiterHint : 0
; COMPUTE_PGM_RSRC2:SCRATCH_EN: 0
; COMPUTE_PGM_RSRC2:USER_SGPR: 6
; COMPUTE_PGM_RSRC2:TRAP_HANDLER: 0
; COMPUTE_PGM_RSRC2:TGID_X_EN: 1
; COMPUTE_PGM_RSRC2:TGID_Y_EN: 0
; COMPUTE_PGM_RSRC2:TGID_Z_EN: 1
; COMPUTE_PGM_RSRC2:TIDIG_COMP_CNT: 0
	.section	.text._ZL26rocblas_trtri_small_kernelILi16E19rocblas_complex_numIdEPKS1_PS1_Ev13rocblas_fill_17rocblas_diagonal_iT1_lillT2_lilli,"axG",@progbits,_ZL26rocblas_trtri_small_kernelILi16E19rocblas_complex_numIdEPKS1_PS1_Ev13rocblas_fill_17rocblas_diagonal_iT1_lillT2_lilli,comdat
	.globl	_ZL26rocblas_trtri_small_kernelILi16E19rocblas_complex_numIdEPKS1_PS1_Ev13rocblas_fill_17rocblas_diagonal_iT1_lillT2_lilli ; -- Begin function _ZL26rocblas_trtri_small_kernelILi16E19rocblas_complex_numIdEPKS1_PS1_Ev13rocblas_fill_17rocblas_diagonal_iT1_lillT2_lilli
	.p2align	8
	.type	_ZL26rocblas_trtri_small_kernelILi16E19rocblas_complex_numIdEPKS1_PS1_Ev13rocblas_fill_17rocblas_diagonal_iT1_lillT2_lilli,@function
_ZL26rocblas_trtri_small_kernelILi16E19rocblas_complex_numIdEPKS1_PS1_Ev13rocblas_fill_17rocblas_diagonal_iT1_lillT2_lilli: ; @_ZL26rocblas_trtri_small_kernelILi16E19rocblas_complex_numIdEPKS1_PS1_Ev13rocblas_fill_17rocblas_diagonal_iT1_lillT2_lilli
; %bb.0:
	s_load_dwordx4 s[16:19], s[4:5], 0x0
	s_waitcnt lgkmcnt(0)
	s_cmp_lt_i32 s18, 1
	s_cbranch_scc1 .LBB13_41
; %bb.1:
	s_load_dwordx8 s[8:15], s[4:5], 0x28
	v_cmp_le_u32_e64 s1, s18, v0
	v_cmp_gt_u32_e64 s0, s18, v0
	s_and_saveexec_b32 s3, s0
	s_cbranch_execz .LBB13_9
; %bb.2:
	s_clause 0x1
	s_load_dwordx4 s[20:23], s[4:5], 0x10
	s_load_dword s24, s[4:5], 0x20
	s_waitcnt lgkmcnt(0)
	s_mul_i32 s2, s9, s7
	s_mul_hi_u32 s9, s8, s7
	s_mul_i32 s8, s8, s7
	s_add_i32 s9, s9, s2
	s_mul_i32 s2, s11, s6
	s_mul_hi_u32 s11, s10, s6
	s_mul_i32 s10, s10, s6
	s_add_i32 s11, s11, s2
	s_cmpk_lg_i32 s16, 0x7a
	s_mov_b32 s2, -1
	s_cbranch_scc0 .LBB13_6
; %bb.3:
	s_add_i32 s2, s18, -1
	s_ashr_i32 s25, s24, 31
	s_lshl_b64 s[26:27], s[10:11], 4
	s_lshl_b64 s[28:29], s[8:9], 4
	s_lshl_b32 s19, s18, 4
	s_add_u32 s28, s26, s28
	s_mul_i32 s26, s25, s2
	s_mul_hi_u32 s30, s24, s2
	s_addc_u32 s29, s27, s29
	s_add_i32 s27, s30, s26
	s_mul_i32 s26, s24, s2
	v_sub_nc_u32_e32 v1, s2, v0
	s_lshl_b64 s[26:27], s[26:27], 4
	s_add_u32 s2, s28, s26
	s_addc_u32 s28, s29, s27
	s_lshl_b64 s[26:27], s[22:23], 4
	v_lshlrev_b32_e32 v3, 4, v1
	v_lshlrev_b32_e32 v1, 4, v0
	s_add_u32 s2, s2, s26
	s_addc_u32 s26, s28, s27
	s_add_u32 s2, s20, s2
	s_addc_u32 s28, s21, s26
	v_add_co_u32 v1, s2, s2, v1
	s_lshl_b64 s[26:27], s[24:25], 4
	v_add_co_ci_u32_e64 v2, null, s28, 0, s2
	s_sub_u32 s25, 0, s26
	s_subb_u32 s27, 0, s27
	s_mov_b32 s26, 0
	s_mov_b32 s28, s18
.LBB13_4:                               ; =>This Inner Loop Header: Depth=1
	global_load_dwordx4 v[4:7], v[1:2], off
	s_add_i32 s28, s28, -1
	v_add_co_u32 v1, vcc_lo, v1, s25
	v_cmp_le_u32_e64 s2, s28, v0
	v_add_co_ci_u32_e64 v2, null, s27, v2, vcc_lo
	s_or_b32 s26, s2, s26
	s_waitcnt vmcnt(0)
	ds_write2_b64 v3, v[4:5], v[6:7] offset1:1
	v_add_nc_u32_e32 v3, s19, v3
	s_andn2_b32 exec_lo, exec_lo, s26
	s_cbranch_execnz .LBB13_4
; %bb.5:
	s_or_b32 exec_lo, exec_lo, s26
	s_mov_b32 s2, 0
.LBB13_6:
	s_and_b32 vcc_lo, exec_lo, s2
	s_cbranch_vccz .LBB13_9
; %bb.7:
	s_lshl_b64 s[8:9], s[8:9], 4
	v_lshlrev_b32_e32 v3, 4, v0
	s_add_u32 s2, s20, s8
	s_addc_u32 s19, s21, s9
	s_lshl_b64 s[8:9], s[22:23], 4
	v_add_nc_u32_e32 v4, 1, v0
	s_add_u32 s2, s2, s8
	s_addc_u32 s19, s19, s9
	s_lshl_b64 s[8:9], s[10:11], 4
	s_mov_b32 s11, 0
	s_add_u32 s2, s2, s8
	s_addc_u32 s8, s19, s9
	v_add_co_u32 v1, s2, s2, v3
	v_add_co_ci_u32_e64 v2, null, s8, 0, s2
	s_ashr_i32 s25, s24, 31
	s_lshl_b32 s10, s18, 4
	s_lshl_b64 s[8:9], s[24:25], 4
.LBB13_8:                               ; =>This Inner Loop Header: Depth=1
	global_load_dwordx4 v[5:8], v[1:2], off
	v_add_nc_u32_e32 v4, -1, v4
	v_add_co_u32 v1, vcc_lo, v1, s8
	v_add_co_ci_u32_e64 v2, null, s9, v2, vcc_lo
	v_cmp_eq_u32_e64 s2, 0, v4
	s_or_b32 s11, s2, s11
	s_waitcnt vmcnt(0)
	ds_write2_b64 v3, v[5:6], v[7:8] offset1:1
	v_add_nc_u32_e32 v3, s10, v3
	s_andn2_b32 exec_lo, exec_lo, s11
	s_cbranch_execnz .LBB13_8
.LBB13_9:
	s_or_b32 exec_lo, exec_lo, s3
	s_waitcnt lgkmcnt(0)
	; wave barrier
	buffer_gl0_inv
                                        ; implicit-def: $vgpr9
	s_and_saveexec_b32 s2, s1
	s_xor_b32 s1, exec_lo, s2
; %bb.10:
	v_mad_u64_u32 v[9:10], null, v0, s18, v[0:1]
; %bb.11:
	s_andn2_saveexec_b32 s2, s1
	s_cbranch_execz .LBB13_22
; %bb.12:
	v_mad_u64_u32 v[9:10], null, v0, s18, v[0:1]
	s_cmpk_eq_i32 s17, 0x84
	v_lshlrev_b32_e32 v10, 4, v9
	s_cbranch_scc1 .LBB13_20
; %bb.13:
	ds_read_b128 v[1:4], v10
	v_mov_b32_e32 v7, 0
	v_mov_b32_e32 v5, 0
	;; [unrolled: 1-line block ×4, first 2 shown]
	s_waitcnt lgkmcnt(0)
	v_cmp_neq_f64_e32 vcc_lo, 0, v[1:2]
	v_cmp_neq_f64_e64 s1, 0, v[3:4]
	s_or_b32 s3, vcc_lo, s1
	s_and_saveexec_b32 s1, s3
	s_cbranch_execz .LBB13_19
; %bb.14:
	v_cmp_ngt_f64_e64 s3, |v[1:2]|, |v[3:4]|
                                        ; implicit-def: $vgpr7_vgpr8
	s_and_saveexec_b32 s8, s3
	s_xor_b32 s3, exec_lo, s8
	s_cbranch_execz .LBB13_16
; %bb.15:
	v_div_scale_f64 v[5:6], null, v[3:4], v[3:4], v[1:2]
	v_div_scale_f64 v[13:14], vcc_lo, v[1:2], v[3:4], v[1:2]
	v_rcp_f64_e32 v[7:8], v[5:6]
	v_fma_f64 v[11:12], -v[5:6], v[7:8], 1.0
	v_fma_f64 v[7:8], v[7:8], v[11:12], v[7:8]
	v_fma_f64 v[11:12], -v[5:6], v[7:8], 1.0
	v_fma_f64 v[7:8], v[7:8], v[11:12], v[7:8]
	v_mul_f64 v[11:12], v[13:14], v[7:8]
	v_fma_f64 v[5:6], -v[5:6], v[11:12], v[13:14]
	v_div_fmas_f64 v[5:6], v[5:6], v[7:8], v[11:12]
	v_div_fixup_f64 v[5:6], v[5:6], v[3:4], v[1:2]
	v_fma_f64 v[1:2], v[1:2], v[5:6], v[3:4]
	v_div_scale_f64 v[3:4], null, v[1:2], v[1:2], 1.0
	v_rcp_f64_e32 v[7:8], v[3:4]
	v_fma_f64 v[11:12], -v[3:4], v[7:8], 1.0
	v_fma_f64 v[7:8], v[7:8], v[11:12], v[7:8]
	v_fma_f64 v[11:12], -v[3:4], v[7:8], 1.0
	v_fma_f64 v[7:8], v[7:8], v[11:12], v[7:8]
	v_div_scale_f64 v[11:12], vcc_lo, 1.0, v[1:2], 1.0
	v_mul_f64 v[13:14], v[11:12], v[7:8]
	v_fma_f64 v[3:4], -v[3:4], v[13:14], v[11:12]
	v_div_fmas_f64 v[3:4], v[3:4], v[7:8], v[13:14]
	v_div_fixup_f64 v[7:8], v[3:4], v[1:2], 1.0
                                        ; implicit-def: $vgpr1_vgpr2
	v_mul_f64 v[5:6], v[5:6], v[7:8]
	v_xor_b32_e32 v8, 0x80000000, v8
.LBB13_16:
	s_andn2_saveexec_b32 s3, s3
	s_cbranch_execz .LBB13_18
; %bb.17:
	v_div_scale_f64 v[5:6], null, v[1:2], v[1:2], v[3:4]
	v_div_scale_f64 v[13:14], vcc_lo, v[3:4], v[1:2], v[3:4]
	v_rcp_f64_e32 v[7:8], v[5:6]
	v_fma_f64 v[11:12], -v[5:6], v[7:8], 1.0
	v_fma_f64 v[7:8], v[7:8], v[11:12], v[7:8]
	v_fma_f64 v[11:12], -v[5:6], v[7:8], 1.0
	v_fma_f64 v[7:8], v[7:8], v[11:12], v[7:8]
	v_mul_f64 v[11:12], v[13:14], v[7:8]
	v_fma_f64 v[5:6], -v[5:6], v[11:12], v[13:14]
	v_div_fmas_f64 v[5:6], v[5:6], v[7:8], v[11:12]
	v_div_fixup_f64 v[7:8], v[5:6], v[1:2], v[3:4]
	v_fma_f64 v[1:2], v[3:4], v[7:8], v[1:2]
	v_div_scale_f64 v[3:4], null, v[1:2], v[1:2], 1.0
	v_rcp_f64_e32 v[5:6], v[3:4]
	v_fma_f64 v[11:12], -v[3:4], v[5:6], 1.0
	v_fma_f64 v[5:6], v[5:6], v[11:12], v[5:6]
	v_fma_f64 v[11:12], -v[3:4], v[5:6], 1.0
	v_fma_f64 v[5:6], v[5:6], v[11:12], v[5:6]
	v_div_scale_f64 v[11:12], vcc_lo, 1.0, v[1:2], 1.0
	v_mul_f64 v[13:14], v[11:12], v[5:6]
	v_fma_f64 v[3:4], -v[3:4], v[13:14], v[11:12]
	v_div_fmas_f64 v[3:4], v[3:4], v[5:6], v[13:14]
	v_div_fixup_f64 v[5:6], v[3:4], v[1:2], 1.0
	v_mul_f64 v[7:8], v[7:8], -v[5:6]
.LBB13_18:
	s_or_b32 exec_lo, exec_lo, s3
.LBB13_19:
	s_or_b32 exec_lo, exec_lo, s1
	s_branch .LBB13_21
.LBB13_20:
	v_mov_b32_e32 v7, 0
	v_mov_b32_e32 v5, 0
	;; [unrolled: 1-line block ×4, first 2 shown]
.LBB13_21:
	ds_write_b128 v10, v[5:8]
.LBB13_22:
	s_or_b32 exec_lo, exec_lo, s2
	v_lshlrev_b32_e32 v5, 4, v0
	s_lshl_b32 s1, s18, 4
	v_lshlrev_b32_e32 v6, 4, v9
	s_mov_b32 s2, 16
	s_add_i32 s3, s1, 16
	v_add_nc_u32_e32 v7, s1, v5
	s_mov_b32 s8, 0
	s_waitcnt lgkmcnt(0)
	; wave barrier
	buffer_gl0_inv
	s_branch .LBB13_24
.LBB13_23:                              ;   in Loop: Header=BB13_24 Depth=1
	s_inst_prefetch 0x2
	v_add_nc_u32_e32 v7, s1, v7
	s_add_i32 s2, s2, s3
	s_cmp_eq_u32 s8, s18
	; wave barrier
	buffer_gl0_inv
	s_cbranch_scc1 .LBB13_33
.LBB13_24:                              ; =>This Loop Header: Depth=1
                                        ;     Child Loop BB13_29 Depth 2
	v_mov_b32_e32 v1, 0
	v_mov_b32_e32 v3, 0
	;; [unrolled: 1-line block ×4, first 2 shown]
	s_mul_i32 s9, s8, s18
	s_mov_b32 s10, exec_lo
	v_cmpx_lt_u32_e64 s8, v0
	s_cbranch_execz .LBB13_26
; %bb.25:                               ;   in Loop: Header=BB13_24 Depth=1
	s_lshl_b32 s11, s9, 4
	s_lshl_b32 s17, s8, 4
	v_add_nc_u32_e32 v8, s11, v5
	s_add_i32 s17, s17, s11
	v_mov_b32_e32 v1, s17
	ds_read_b128 v[1:4], v1
	ds_read_b128 v[8:11], v8
	s_waitcnt lgkmcnt(0)
	v_mul_f64 v[12:13], v[3:4], v[10:11]
	v_mul_f64 v[10:11], v[1:2], v[10:11]
	v_fma_f64 v[1:2], v[1:2], v[8:9], -v[12:13]
	v_fma_f64 v[3:4], v[3:4], v[8:9], v[10:11]
	v_add_f64 v[1:2], v[1:2], 0
	v_add_f64 v[3:4], v[3:4], 0
.LBB13_26:                              ;   in Loop: Header=BB13_24 Depth=1
	s_or_b32 exec_lo, exec_lo, s10
	s_add_i32 s8, s8, 1
	s_cmp_ge_i32 s8, s18
	; wave barrier
	buffer_gl0_inv
	s_cbranch_scc1 .LBB13_23
; %bb.27:                               ;   in Loop: Header=BB13_24 Depth=1
	v_lshl_add_u32 v8, s9, 4, v5
	v_mov_b32_e32 v9, v7
	s_mov_b32 s9, s2
	s_mov_b32 s10, s8
	s_inst_prefetch 0x1
	s_branch .LBB13_29
	.p2align	6
.LBB13_28:                              ;   in Loop: Header=BB13_29 Depth=2
	s_or_b32 exec_lo, exec_lo, s11
	v_add_nc_u32_e32 v9, s1, v9
	s_add_i32 s10, s10, 1
	s_add_i32 s9, s9, 16
	s_cmp_eq_u32 s18, s10
	; wave barrier
	buffer_gl0_inv
	s_cbranch_scc1 .LBB13_23
.LBB13_29:                              ;   Parent Loop BB13_24 Depth=1
                                        ; =>  This Inner Loop Header: Depth=2
	s_mov_b32 s11, exec_lo
	v_cmpx_eq_u32_e64 s10, v0
	s_cbranch_execz .LBB13_31
; %bb.30:                               ;   in Loop: Header=BB13_29 Depth=2
	ds_read_b128 v[10:13], v6
	v_add_f64 v[14:15], -v[1:2], 0
	s_waitcnt lgkmcnt(0)
	v_mul_f64 v[16:17], v[3:4], v[12:13]
	v_mul_f64 v[18:19], v[3:4], v[10:11]
	v_fma_f64 v[10:11], v[14:15], v[10:11], v[16:17]
	v_fma_f64 v[12:13], v[14:15], v[12:13], -v[18:19]
	ds_write_b128 v8, v[10:13]
.LBB13_31:                              ;   in Loop: Header=BB13_29 Depth=2
	s_or_b32 exec_lo, exec_lo, s11
	s_mov_b32 s11, exec_lo
	s_waitcnt lgkmcnt(0)
	; wave barrier
	buffer_gl0_inv
	v_cmpx_lt_u32_e64 s10, v0
	s_cbranch_execz .LBB13_28
; %bb.32:                               ;   in Loop: Header=BB13_29 Depth=2
	v_mov_b32_e32 v14, s9
	ds_read_b128 v[10:13], v9
	ds_read_b128 v[14:17], v14
	s_waitcnt lgkmcnt(0)
	v_mul_f64 v[18:19], v[16:17], v[12:13]
	v_mul_f64 v[12:13], v[14:15], v[12:13]
	v_fma_f64 v[14:15], v[14:15], v[10:11], -v[18:19]
	v_fma_f64 v[10:11], v[16:17], v[10:11], v[12:13]
	v_add_f64 v[1:2], v[1:2], v[14:15]
	v_add_f64 v[3:4], v[3:4], v[10:11]
	s_branch .LBB13_28
.LBB13_33:
	s_and_saveexec_b32 s2, s0
	s_cbranch_execz .LBB13_41
; %bb.34:
	s_clause 0x1
	s_load_dwordx4 s[8:11], s[4:5], 0x50
	s_load_dword s2, s[4:5], 0x48
	s_waitcnt lgkmcnt(0)
	s_mul_i32 s0, s9, s7
	s_mul_hi_u32 s3, s8, s7
	s_mul_i32 s4, s8, s7
	s_mul_i32 s7, s11, s6
	s_mul_hi_u32 s8, s10, s6
	s_add_i32 s5, s3, s0
	s_add_i32 s7, s8, s7
	s_mul_i32 s6, s10, s6
	s_cmpk_lg_i32 s16, 0x7a
	s_mov_b32 s0, -1
	s_cbranch_scc0 .LBB13_38
; %bb.35:
	s_add_i32 s0, s18, -1
	s_lshl_b64 s[8:9], s[6:7], 4
	s_lshl_b64 s[10:11], s[4:5], 4
	s_ashr_i32 s3, s2, 31
	s_add_u32 s10, s8, s10
	s_mul_i32 s8, s3, s0
	s_mul_hi_u32 s16, s2, s0
	s_addc_u32 s11, s9, s11
	s_add_i32 s9, s16, s8
	s_mul_i32 s8, s2, s0
	v_sub_nc_u32_e32 v1, s0, v0
	s_lshl_b64 s[8:9], s[8:9], 4
	s_add_u32 s0, s10, s8
	s_addc_u32 s10, s11, s9
	s_lshl_b64 s[8:9], s[14:15], 4
	v_lshlrev_b32_e32 v3, 4, v1
	v_lshlrev_b32_e32 v1, 4, v0
	s_add_u32 s0, s0, s8
	s_addc_u32 s8, s10, s9
	s_add_u32 s0, s12, s0
	s_addc_u32 s10, s13, s8
	v_add_co_u32 v1, s0, s0, v1
	s_lshl_b64 s[8:9], s[2:3], 4
	v_add_co_ci_u32_e64 v2, null, s10, 0, s0
	s_sub_u32 s3, 0, s8
	s_subb_u32 s9, 0, s9
	s_mov_b32 s8, 0
.LBB13_36:                              ; =>This Inner Loop Header: Depth=1
	ds_read2_b64 v[6:9], v3 offset1:1
	s_add_i32 s18, s18, -1
	v_add_nc_u32_e32 v3, s1, v3
	v_cmp_le_u32_e32 vcc_lo, s18, v0
	s_or_b32 s8, vcc_lo, s8
	s_waitcnt lgkmcnt(0)
	global_store_dwordx4 v[1:2], v[6:9], off
	v_add_co_u32 v1, s0, v1, s3
	v_add_co_ci_u32_e64 v2, null, s9, v2, s0
	s_andn2_b32 exec_lo, exec_lo, s8
	s_cbranch_execnz .LBB13_36
; %bb.37:
	s_or_b32 exec_lo, exec_lo, s8
	s_mov_b32 s0, 0
.LBB13_38:
	s_and_b32 vcc_lo, exec_lo, s0
	s_cbranch_vccz .LBB13_41
; %bb.39:
	s_lshl_b64 s[4:5], s[4:5], 4
	v_lshlrev_b32_e32 v1, 4, v0
	s_add_u32 s0, s12, s4
	s_addc_u32 s3, s13, s5
	s_lshl_b64 s[4:5], s[14:15], 4
	v_add_nc_u32_e32 v0, 1, v0
	s_add_u32 s0, s0, s4
	s_addc_u32 s3, s3, s5
	s_lshl_b64 s[4:5], s[6:7], 4
	s_add_u32 s0, s0, s4
	s_addc_u32 s4, s3, s5
	v_add_co_u32 v1, s0, s0, v1
	v_add_co_ci_u32_e64 v2, null, s4, 0, s0
	s_ashr_i32 s3, s2, 31
	s_mov_b32 s4, 0
	s_lshl_b64 s[2:3], s[2:3], 4
.LBB13_40:                              ; =>This Inner Loop Header: Depth=1
	ds_read2_b64 v[6:9], v5 offset1:1
	v_add_nc_u32_e32 v0, -1, v0
	v_add_nc_u32_e32 v5, s1, v5
	v_cmp_eq_u32_e32 vcc_lo, 0, v0
	s_or_b32 s4, vcc_lo, s4
	s_waitcnt lgkmcnt(0)
	global_store_dwordx4 v[1:2], v[6:9], off
	v_add_co_u32 v1, s0, v1, s2
	v_add_co_ci_u32_e64 v2, null, s3, v2, s0
	s_andn2_b32 exec_lo, exec_lo, s4
	s_cbranch_execnz .LBB13_40
.LBB13_41:
	s_endpgm
	.section	.rodata,"a",@progbits
	.p2align	6, 0x0
	.amdhsa_kernel _ZL26rocblas_trtri_small_kernelILi16E19rocblas_complex_numIdEPKS1_PS1_Ev13rocblas_fill_17rocblas_diagonal_iT1_lillT2_lilli
		.amdhsa_group_segment_fixed_size 4096
		.amdhsa_private_segment_fixed_size 0
		.amdhsa_kernarg_size 100
		.amdhsa_user_sgpr_count 6
		.amdhsa_user_sgpr_private_segment_buffer 1
		.amdhsa_user_sgpr_dispatch_ptr 0
		.amdhsa_user_sgpr_queue_ptr 0
		.amdhsa_user_sgpr_kernarg_segment_ptr 1
		.amdhsa_user_sgpr_dispatch_id 0
		.amdhsa_user_sgpr_flat_scratch_init 0
		.amdhsa_user_sgpr_private_segment_size 0
		.amdhsa_wavefront_size32 1
		.amdhsa_uses_dynamic_stack 0
		.amdhsa_system_sgpr_private_segment_wavefront_offset 0
		.amdhsa_system_sgpr_workgroup_id_x 1
		.amdhsa_system_sgpr_workgroup_id_y 0
		.amdhsa_system_sgpr_workgroup_id_z 1
		.amdhsa_system_sgpr_workgroup_info 0
		.amdhsa_system_vgpr_workitem_id 0
		.amdhsa_next_free_vgpr 113
		.amdhsa_next_free_sgpr 31
		.amdhsa_reserve_vcc 1
		.amdhsa_reserve_flat_scratch 0
		.amdhsa_float_round_mode_32 0
		.amdhsa_float_round_mode_16_64 0
		.amdhsa_float_denorm_mode_32 3
		.amdhsa_float_denorm_mode_16_64 3
		.amdhsa_dx10_clamp 1
		.amdhsa_ieee_mode 1
		.amdhsa_fp16_overflow 0
		.amdhsa_workgroup_processor_mode 1
		.amdhsa_memory_ordered 1
		.amdhsa_forward_progress 1
		.amdhsa_shared_vgpr_count 0
		.amdhsa_exception_fp_ieee_invalid_op 0
		.amdhsa_exception_fp_denorm_src 0
		.amdhsa_exception_fp_ieee_div_zero 0
		.amdhsa_exception_fp_ieee_overflow 0
		.amdhsa_exception_fp_ieee_underflow 0
		.amdhsa_exception_fp_ieee_inexact 0
		.amdhsa_exception_int_div_zero 0
	.end_amdhsa_kernel
	.section	.text._ZL26rocblas_trtri_small_kernelILi16E19rocblas_complex_numIdEPKS1_PS1_Ev13rocblas_fill_17rocblas_diagonal_iT1_lillT2_lilli,"axG",@progbits,_ZL26rocblas_trtri_small_kernelILi16E19rocblas_complex_numIdEPKS1_PS1_Ev13rocblas_fill_17rocblas_diagonal_iT1_lillT2_lilli,comdat
.Lfunc_end13:
	.size	_ZL26rocblas_trtri_small_kernelILi16E19rocblas_complex_numIdEPKS1_PS1_Ev13rocblas_fill_17rocblas_diagonal_iT1_lillT2_lilli, .Lfunc_end13-_ZL26rocblas_trtri_small_kernelILi16E19rocblas_complex_numIdEPKS1_PS1_Ev13rocblas_fill_17rocblas_diagonal_iT1_lillT2_lilli
                                        ; -- End function
	.set _ZL26rocblas_trtri_small_kernelILi16E19rocblas_complex_numIdEPKS1_PS1_Ev13rocblas_fill_17rocblas_diagonal_iT1_lillT2_lilli.num_vgpr, 20
	.set _ZL26rocblas_trtri_small_kernelILi16E19rocblas_complex_numIdEPKS1_PS1_Ev13rocblas_fill_17rocblas_diagonal_iT1_lillT2_lilli.num_agpr, 0
	.set _ZL26rocblas_trtri_small_kernelILi16E19rocblas_complex_numIdEPKS1_PS1_Ev13rocblas_fill_17rocblas_diagonal_iT1_lillT2_lilli.numbered_sgpr, 31
	.set _ZL26rocblas_trtri_small_kernelILi16E19rocblas_complex_numIdEPKS1_PS1_Ev13rocblas_fill_17rocblas_diagonal_iT1_lillT2_lilli.num_named_barrier, 0
	.set _ZL26rocblas_trtri_small_kernelILi16E19rocblas_complex_numIdEPKS1_PS1_Ev13rocblas_fill_17rocblas_diagonal_iT1_lillT2_lilli.private_seg_size, 0
	.set _ZL26rocblas_trtri_small_kernelILi16E19rocblas_complex_numIdEPKS1_PS1_Ev13rocblas_fill_17rocblas_diagonal_iT1_lillT2_lilli.uses_vcc, 1
	.set _ZL26rocblas_trtri_small_kernelILi16E19rocblas_complex_numIdEPKS1_PS1_Ev13rocblas_fill_17rocblas_diagonal_iT1_lillT2_lilli.uses_flat_scratch, 0
	.set _ZL26rocblas_trtri_small_kernelILi16E19rocblas_complex_numIdEPKS1_PS1_Ev13rocblas_fill_17rocblas_diagonal_iT1_lillT2_lilli.has_dyn_sized_stack, 0
	.set _ZL26rocblas_trtri_small_kernelILi16E19rocblas_complex_numIdEPKS1_PS1_Ev13rocblas_fill_17rocblas_diagonal_iT1_lillT2_lilli.has_recursion, 0
	.set _ZL26rocblas_trtri_small_kernelILi16E19rocblas_complex_numIdEPKS1_PS1_Ev13rocblas_fill_17rocblas_diagonal_iT1_lillT2_lilli.has_indirect_call, 0
	.section	.AMDGPU.csdata,"",@progbits
; Kernel info:
; codeLenInByte = 1900
; TotalNumSgprs: 33
; NumVgprs: 20
; ScratchSize: 0
; MemoryBound: 0
; FloatMode: 240
; IeeeMode: 1
; LDSByteSize: 4096 bytes/workgroup (compile time only)
; SGPRBlocks: 0
; VGPRBlocks: 14
; NumSGPRsForWavesPerEU: 33
; NumVGPRsForWavesPerEU: 113
; Occupancy: 8
; WaveLimiterHint : 0
; COMPUTE_PGM_RSRC2:SCRATCH_EN: 0
; COMPUTE_PGM_RSRC2:USER_SGPR: 6
; COMPUTE_PGM_RSRC2:TRAP_HANDLER: 0
; COMPUTE_PGM_RSRC2:TGID_X_EN: 1
; COMPUTE_PGM_RSRC2:TGID_Y_EN: 0
; COMPUTE_PGM_RSRC2:TGID_Z_EN: 1
; COMPUTE_PGM_RSRC2:TIDIG_COMP_CNT: 0
	.section	.text._ZL29rocblas_trtri_diagonal_kernelILi16E19rocblas_complex_numIdEPKS1_PS1_Ev13rocblas_fill_17rocblas_diagonal_iT1_lillT2_lilli,"axG",@progbits,_ZL29rocblas_trtri_diagonal_kernelILi16E19rocblas_complex_numIdEPKS1_PS1_Ev13rocblas_fill_17rocblas_diagonal_iT1_lillT2_lilli,comdat
	.globl	_ZL29rocblas_trtri_diagonal_kernelILi16E19rocblas_complex_numIdEPKS1_PS1_Ev13rocblas_fill_17rocblas_diagonal_iT1_lillT2_lilli ; -- Begin function _ZL29rocblas_trtri_diagonal_kernelILi16E19rocblas_complex_numIdEPKS1_PS1_Ev13rocblas_fill_17rocblas_diagonal_iT1_lillT2_lilli
	.p2align	8
	.type	_ZL29rocblas_trtri_diagonal_kernelILi16E19rocblas_complex_numIdEPKS1_PS1_Ev13rocblas_fill_17rocblas_diagonal_iT1_lillT2_lilli,@function
_ZL29rocblas_trtri_diagonal_kernelILi16E19rocblas_complex_numIdEPKS1_PS1_Ev13rocblas_fill_17rocblas_diagonal_iT1_lillT2_lilli: ; @_ZL29rocblas_trtri_diagonal_kernelILi16E19rocblas_complex_numIdEPKS1_PS1_Ev13rocblas_fill_17rocblas_diagonal_iT1_lillT2_lilli
; %bb.0:
	s_load_dwordx4 s[16:19], s[4:5], 0x0
	s_waitcnt lgkmcnt(0)
	s_ashr_i32 s0, s18, 31
	s_lshr_b32 s0, s0, 27
	s_add_i32 s0, s18, s0
	s_ashr_i32 s0, s0, 5
	v_cvt_f32_u32_e32 v1, s0
	s_sub_i32 s2, 0, s0
	v_rcp_iflag_f32_e32 v1, v1
	v_mul_f32_e32 v1, 0x4f7ffffe, v1
	v_cvt_u32_f32_e32 v1, v1
	v_readfirstlane_b32 s1, v1
	s_mul_i32 s2, s2, s1
	s_mul_hi_u32 s2, s1, s2
	s_add_i32 s1, s1, s2
	s_mul_hi_u32 s1, s6, s1
	s_mul_i32 s2, s1, s0
	s_add_i32 s3, s1, 1
	s_sub_i32 s2, s6, s2
	s_sub_i32 s8, s2, s0
	s_cmp_ge_u32 s2, s0
	s_cselect_b32 s1, s3, s1
	s_cselect_b32 s2, s8, s2
	s_add_i32 s3, s1, 1
	s_cmp_ge_u32 s2, s0
	s_cselect_b32 s28, s3, s1
	s_mul_i32 s0, s28, s0
	s_sub_i32 s29, s6, s0
	s_lshl_b32 s0, s29, 4
	s_cmp_eq_u32 s18, s0
	s_cbranch_scc1 .LBB14_98
; %bb.1:
	s_sub_i32 s27, s18, s0
	v_mov_b32_e32 v9, v0
	s_min_u32 s26, s27, 16
	s_lshl_b32 s6, s26, 1
	v_cmp_gt_u32_e64 s2, s26, v0
	v_cmp_le_u32_e64 s0, s26, v0
	v_cmp_gt_u32_e64 s1, s6, v0
	v_cmp_le_u32_e32 vcc_lo, s6, v0
	s_and_saveexec_b32 s3, s0
	s_cbranch_execz .LBB14_7
; %bb.2:
                                        ; implicit-def: $vgpr9
	s_and_saveexec_b32 s8, vcc_lo
	s_xor_b32 s8, exec_lo, s8
; %bb.3:
	v_subrev_nc_u32_e32 v9, s6, v0
; %bb.4:
	s_andn2_saveexec_b32 s6, s8
; %bb.5:
	v_subrev_nc_u32_e32 v9, s26, v0
; %bb.6:
	s_or_b32 exec_lo, exec_lo, s6
.LBB14_7:
	s_or_b32 exec_lo, exec_lo, s3
	s_clause 0x2
	s_load_dword s18, s[4:5], 0x20
	s_load_dwordx8 s[8:15], s[4:5], 0x28
	s_load_dwordx4 s[20:23], s[4:5], 0x10
	v_cndmask_b32_e64 v1, 0, 0x3000, s1
	v_cndmask_b32_e64 v11, v1, 0x2000, s2
	s_waitcnt lgkmcnt(0)
	s_ashr_i32 s19, s18, 31
	s_mul_i32 s3, s9, s7
	s_mul_hi_u32 s6, s8, s7
	s_mul_i32 s2, s8, s7
	s_lshl_b64 s[8:9], s[18:19], 5
	s_add_i32 s3, s6, s3
	s_add_u32 s6, s8, 32
	s_mul_i32 s11, s11, s28
	s_mul_hi_u32 s24, s10, s28
	s_addc_u32 s8, s9, 0
	s_add_i32 s11, s24, s11
	s_mul_hi_u32 s9, s6, s29
	s_mul_i32 s24, s8, s29
	s_mul_i32 s8, s6, s29
	s_add_i32 s9, s9, s24
	s_mul_i32 s10, s10, s28
	s_and_saveexec_b32 s6, vcc_lo
	s_xor_b32 s6, exec_lo, s6
	s_cbranch_execz .LBB14_17
; %bb.8:
	s_mul_i32 s24, s26, 3
	s_mov_b32 s30, exec_lo
	v_cmpx_gt_u32_e64 s24, v0
	s_cbranch_execz .LBB14_16
; %bb.9:
	s_cmpk_eq_i32 s16, 0x7a
	s_mov_b32 s24, -1
	s_cbranch_scc1 .LBB14_13
; %bb.10:
	s_add_i32 s34, s26, -1
	s_lshl_b32 s33, s26, 4
	s_mul_i32 s25, s26, s34
	s_lshl_b64 s[36:37], s[10:11], 4
	s_lshl_b64 s[38:39], s[2:3], 4
	s_add_i32 s24, s26, 1
	s_lshl_b32 s31, s25, 4
	s_sub_i32 s25, 0, s33
	s_add_u32 s38, s36, s38
	s_addc_u32 s39, s37, s39
	s_lshl_b64 s[36:37], s[8:9], 4
	s_mov_b32 s35, 0
	v_lshlrev_b32_e32 v1, 4, v9
	s_add_u32 s36, s38, s36
	s_addc_u32 s37, s39, s37
	s_lshl_b64 s[34:35], s[34:35], 4
	v_ashrrev_i32_e32 v10, 31, v9
	s_add_u32 s33, s33, s34
	v_add3_u32 v3, s31, v1, v11
	s_mul_i32 s31, s33, s19
	s_mul_hi_u32 s34, s33, s18
	s_addc_u32 s35, 0, s35
	s_add_i32 s31, s34, s31
	s_mul_i32 s35, s35, s18
	s_mul_i32 s33, s33, s18
	s_add_i32 s31, s31, s35
	s_add_u32 s33, s36, s33
	s_addc_u32 s31, s37, s31
	s_lshl_b64 s[34:35], s[22:23], 4
	v_lshlrev_b64 v[1:2], 4, v[9:10]
	s_add_u32 s33, s33, s34
	s_addc_u32 s31, s31, s35
	s_add_u32 s33, s20, s33
	s_addc_u32 s31, s21, s31
	s_lshl_b64 s[34:35], s[18:19], 4
	v_add_co_u32 v1, vcc_lo, s33, v1
	v_add_co_ci_u32_e64 v2, null, s31, v2, vcc_lo
	s_sub_u32 s31, 0, s34
	s_subb_u32 s33, 0, s35
.LBB14_11:                              ; =>This Inner Loop Header: Depth=1
	global_load_dwordx4 v[4:7], v[1:2], off
	v_add_co_u32 v1, vcc_lo, v1, s31
	v_add_co_ci_u32_e64 v2, null, s33, v2, vcc_lo
	s_add_i32 s24, s24, -1
	s_cmp_gt_u32 s24, 1
	s_waitcnt vmcnt(0)
	ds_write2_b64 v3, v[4:5], v[6:7] offset1:1
	v_add_nc_u32_e32 v3, s25, v3
	s_cbranch_scc1 .LBB14_11
; %bb.12:
	s_mov_b32 s24, 0
.LBB14_13:
	s_and_b32 vcc_lo, exec_lo, s24
	s_cbranch_vccz .LBB14_16
; %bb.14:
	v_add_nc_u32_e32 v1, s26, v9
	s_lshl_b64 s[24:25], s[2:3], 4
	v_lshl_add_u32 v3, v9, 4, v11
	s_add_u32 s31, s20, s24
	s_addc_u32 s33, s21, s25
	v_ashrrev_i32_e32 v2, 31, v1
	s_lshl_b64 s[24:25], s[22:23], 4
	s_add_u32 s31, s31, s24
	s_addc_u32 s33, s33, s25
	s_lshl_b64 s[24:25], s[8:9], 4
	v_lshlrev_b64 v[1:2], 4, v[1:2]
	s_add_u32 s31, s31, s24
	s_addc_u32 s33, s33, s25
	s_lshl_b64 s[24:25], s[10:11], 4
	s_add_u32 s24, s31, s24
	s_addc_u32 s25, s33, s25
	v_add_co_u32 v1, vcc_lo, s24, v1
	v_add_co_ci_u32_e64 v2, null, s25, v2, vcc_lo
	s_lshl_b32 s31, s26, 4
	s_lshl_b64 s[24:25], s[18:19], 4
	s_mov_b32 s33, s26
.LBB14_15:                              ; =>This Inner Loop Header: Depth=1
	global_load_dwordx4 v[4:7], v[1:2], off
	v_add_co_u32 v1, vcc_lo, v1, s24
	v_add_co_ci_u32_e64 v2, null, s25, v2, vcc_lo
	s_add_i32 s33, s33, -1
	s_cmp_eq_u32 s33, 0
	s_waitcnt vmcnt(0)
	ds_write2_b64 v3, v[4:5], v[6:7] offset1:1
	v_add_nc_u32_e32 v3, s31, v3
	s_cbranch_scc0 .LBB14_15
.LBB14_16:
	s_or_b32 exec_lo, exec_lo, s30
.LBB14_17:
	s_andn2_saveexec_b32 s6, s6
	s_cbranch_execz .LBB14_31
; %bb.18:
	v_mov_b32_e32 v1, 0
	v_mov_b32_e32 v2, 0
	s_and_saveexec_b32 s24, s0
; %bb.19:
	s_add_u32 s25, s18, 1
	s_addc_u32 s30, s19, 0
	s_mul_hi_u32 s31, s25, s26
	s_mul_i32 s30, s30, s26
	s_add_i32 s31, s31, s30
	s_mul_i32 s30, s25, s26
	v_mov_b32_e32 v1, s30
	v_mov_b32_e32 v2, s31
; %bb.20:
	s_or_b32 exec_lo, exec_lo, s24
	v_lshlrev_b64 v[5:6], 4, v[1:2]
	s_cmpk_lg_i32 s16, 0x7a
	s_mov_b32 s24, -1
	s_cbranch_scc0 .LBB14_26
; %bb.21:
	s_lshl_b64 s[24:25], s[10:11], 4
	s_lshl_b64 s[30:31], s[2:3], 4
	s_add_i32 s33, s26, -1
	s_add_u32 s30, s24, s30
	s_addc_u32 s31, s25, s31
	s_lshl_b64 s[24:25], s[8:9], 4
	s_mul_hi_u32 s34, s18, s33
	s_add_u32 s30, s30, s24
	s_mul_i32 s24, s19, s33
	s_addc_u32 s31, s31, s25
	s_add_i32 s25, s34, s24
	s_mul_i32 s24, s18, s33
	v_ashrrev_i32_e32 v10, 31, v9
	s_lshl_b64 s[24:25], s[24:25], 4
	v_sub_nc_u32_e32 v7, s33, v9
	s_add_u32 s30, s30, s24
	s_addc_u32 s31, s31, s25
	s_lshl_b64 s[24:25], s[22:23], 4
	v_lshlrev_b64 v[1:2], 4, v[9:10]
	s_add_u32 s24, s24, s30
	s_addc_u32 s25, s25, s31
	v_add_co_u32 v3, vcc_lo, s24, v5
	v_add_co_ci_u32_e64 v4, null, s25, v6, vcc_lo
	v_lshl_add_u32 v10, v7, 4, v11
	v_add_co_u32 v1, vcc_lo, v3, v1
	v_add_co_ci_u32_e64 v2, null, v4, v2, vcc_lo
	s_lshl_b64 s[24:25], s[18:19], 4
	v_add_co_u32 v1, vcc_lo, s20, v1
	v_add_co_ci_u32_e64 v2, null, s21, v2, vcc_lo
	s_sub_u32 s24, 0, s24
	v_add_co_u32 v7, vcc_lo, v1, 8
	v_add_co_ci_u32_e64 v8, null, 0, v2, vcc_lo
	s_subb_u32 s25, 0, s25
	s_lshl_b32 s30, s26, 4
	s_mov_b32 s31, s26
	s_branch .LBB14_23
	.p2align	6
.LBB14_22:                              ;   in Loop: Header=BB14_23 Depth=1
	s_or_b32 exec_lo, exec_lo, s33
	v_add_co_u32 v7, vcc_lo, v7, s24
	s_waitcnt vmcnt(0)
	ds_write_b128 v10, v[1:4]
	v_add_co_ci_u32_e64 v8, null, s25, v8, vcc_lo
	v_add_nc_u32_e32 v10, s30, v10
	s_cmp_lt_i32 s31, 1
	s_cbranch_scc1 .LBB14_25
.LBB14_23:                              ; =>This Inner Loop Header: Depth=1
	v_mov_b32_e32 v1, 0
	v_mov_b32_e32 v3, 0
	;; [unrolled: 1-line block ×4, first 2 shown]
	s_add_i32 s31, s31, -1
	s_mov_b32 s33, exec_lo
	v_cmpx_ge_i32_e64 s31, v9
	s_cbranch_execz .LBB14_22
; %bb.24:                               ;   in Loop: Header=BB14_23 Depth=1
	global_load_dwordx4 v[1:4], v[7:8], off offset:-8
	s_branch .LBB14_22
.LBB14_25:
	s_mov_b32 s24, 0
.LBB14_26:
	s_and_b32 vcc_lo, exec_lo, s24
	s_cbranch_vccz .LBB14_31
; %bb.27:
	s_lshl_b64 s[10:11], s[10:11], 4
	s_lshl_b64 s[2:3], s[2:3], 4
	v_ashrrev_i32_e32 v10, 31, v9
	s_add_u32 s10, s10, s2
	s_addc_u32 s11, s11, s3
	s_lshl_b64 s[2:3], s[8:9], 4
	v_lshl_add_u32 v7, v9, 4, v11
	s_add_u32 s8, s10, s2
	s_addc_u32 s9, s11, s3
	s_lshl_b64 s[2:3], s[22:23], 4
	v_lshlrev_b64 v[1:2], 4, v[9:10]
	s_add_u32 s2, s2, s8
	s_addc_u32 s3, s3, s9
	v_add_co_u32 v3, vcc_lo, s2, v5
	v_add_co_ci_u32_e64 v4, null, s3, v6, vcc_lo
	s_lshl_b64 s[2:3], s[18:19], 4
	v_add_co_u32 v1, vcc_lo, v3, v1
	v_add_co_ci_u32_e64 v2, null, v4, v2, vcc_lo
	s_lshl_b32 s8, s26, 4
	v_add_co_u32 v1, vcc_lo, s20, v1
	v_add_co_ci_u32_e64 v2, null, s21, v2, vcc_lo
	s_mov_b32 s9, 0
	v_add_co_u32 v5, vcc_lo, v1, 8
	v_add_co_ci_u32_e64 v6, null, 0, v2, vcc_lo
	s_branch .LBB14_29
	.p2align	6
.LBB14_28:                              ;   in Loop: Header=BB14_29 Depth=1
	s_or_b32 exec_lo, exec_lo, s10
	v_add_co_u32 v5, vcc_lo, v5, s2
	s_waitcnt vmcnt(0)
	ds_write_b128 v7, v[1:4]
	v_add_co_ci_u32_e64 v6, null, s3, v6, vcc_lo
	v_add_nc_u32_e32 v7, s8, v7
	s_add_i32 s9, s9, 1
	s_cmp_eq_u32 s26, s9
	s_cbranch_scc1 .LBB14_31
.LBB14_29:                              ; =>This Inner Loop Header: Depth=1
	v_mov_b32_e32 v1, 0
	v_mov_b32_e32 v3, 0
	;; [unrolled: 1-line block ×4, first 2 shown]
	s_mov_b32 s10, exec_lo
	v_cmpx_le_i32_e64 s9, v9
	s_cbranch_execz .LBB14_28
; %bb.30:                               ;   in Loop: Header=BB14_29 Depth=1
	global_load_dwordx4 v[1:4], v[5:6], off offset:-8
	s_branch .LBB14_28
.LBB14_31:
	s_or_b32 exec_lo, exec_lo, s6
	s_waitcnt lgkmcnt(0)
	s_barrier
	buffer_gl0_inv
	s_and_saveexec_b32 s3, s1
	s_cbranch_execz .LBB14_42
; %bb.32:
	s_add_i32 s2, s26, 1
	s_cmpk_eq_i32 s17, 0x84
	v_mul_i32_i24_e32 v1, s2, v9
	v_lshl_add_u32 v10, v1, 4, v11
	s_cbranch_scc1 .LBB14_40
; %bb.33:
	ds_read_b128 v[1:4], v10
	v_mov_b32_e32 v7, 0
	v_mov_b32_e32 v5, 0
	v_mov_b32_e32 v8, 0
	v_mov_b32_e32 v6, 0x3ff00000
	s_waitcnt lgkmcnt(0)
	v_cmp_neq_f64_e32 vcc_lo, 0, v[1:2]
	v_cmp_neq_f64_e64 s2, 0, v[3:4]
	s_or_b32 s6, vcc_lo, s2
	s_and_saveexec_b32 s2, s6
	s_cbranch_execz .LBB14_39
; %bb.34:
	v_cmp_ngt_f64_e64 s6, |v[1:2]|, |v[3:4]|
                                        ; implicit-def: $vgpr7_vgpr8
	s_and_saveexec_b32 s8, s6
	s_xor_b32 s6, exec_lo, s8
	s_cbranch_execz .LBB14_36
; %bb.35:
	v_div_scale_f64 v[5:6], null, v[3:4], v[3:4], v[1:2]
	v_div_scale_f64 v[14:15], vcc_lo, v[1:2], v[3:4], v[1:2]
	v_rcp_f64_e32 v[7:8], v[5:6]
	v_fma_f64 v[12:13], -v[5:6], v[7:8], 1.0
	v_fma_f64 v[7:8], v[7:8], v[12:13], v[7:8]
	v_fma_f64 v[12:13], -v[5:6], v[7:8], 1.0
	v_fma_f64 v[7:8], v[7:8], v[12:13], v[7:8]
	v_mul_f64 v[12:13], v[14:15], v[7:8]
	v_fma_f64 v[5:6], -v[5:6], v[12:13], v[14:15]
	v_div_fmas_f64 v[5:6], v[5:6], v[7:8], v[12:13]
	v_div_fixup_f64 v[5:6], v[5:6], v[3:4], v[1:2]
	v_fma_f64 v[1:2], v[1:2], v[5:6], v[3:4]
	v_div_scale_f64 v[3:4], null, v[1:2], v[1:2], 1.0
	v_rcp_f64_e32 v[7:8], v[3:4]
	v_fma_f64 v[12:13], -v[3:4], v[7:8], 1.0
	v_fma_f64 v[7:8], v[7:8], v[12:13], v[7:8]
	v_fma_f64 v[12:13], -v[3:4], v[7:8], 1.0
	v_fma_f64 v[7:8], v[7:8], v[12:13], v[7:8]
	v_div_scale_f64 v[12:13], vcc_lo, 1.0, v[1:2], 1.0
	v_mul_f64 v[14:15], v[12:13], v[7:8]
	v_fma_f64 v[3:4], -v[3:4], v[14:15], v[12:13]
	v_div_fmas_f64 v[3:4], v[3:4], v[7:8], v[14:15]
	v_div_fixup_f64 v[7:8], v[3:4], v[1:2], 1.0
                                        ; implicit-def: $vgpr1_vgpr2
	v_mul_f64 v[5:6], v[5:6], v[7:8]
	v_xor_b32_e32 v8, 0x80000000, v8
.LBB14_36:
	s_andn2_saveexec_b32 s6, s6
	s_cbranch_execz .LBB14_38
; %bb.37:
	v_div_scale_f64 v[5:6], null, v[1:2], v[1:2], v[3:4]
	v_div_scale_f64 v[14:15], vcc_lo, v[3:4], v[1:2], v[3:4]
	v_rcp_f64_e32 v[7:8], v[5:6]
	v_fma_f64 v[12:13], -v[5:6], v[7:8], 1.0
	v_fma_f64 v[7:8], v[7:8], v[12:13], v[7:8]
	v_fma_f64 v[12:13], -v[5:6], v[7:8], 1.0
	v_fma_f64 v[7:8], v[7:8], v[12:13], v[7:8]
	v_mul_f64 v[12:13], v[14:15], v[7:8]
	v_fma_f64 v[5:6], -v[5:6], v[12:13], v[14:15]
	v_div_fmas_f64 v[5:6], v[5:6], v[7:8], v[12:13]
	v_div_fixup_f64 v[7:8], v[5:6], v[1:2], v[3:4]
	v_fma_f64 v[1:2], v[3:4], v[7:8], v[1:2]
	v_div_scale_f64 v[3:4], null, v[1:2], v[1:2], 1.0
	v_rcp_f64_e32 v[5:6], v[3:4]
	v_fma_f64 v[12:13], -v[3:4], v[5:6], 1.0
	v_fma_f64 v[5:6], v[5:6], v[12:13], v[5:6]
	v_fma_f64 v[12:13], -v[3:4], v[5:6], 1.0
	v_fma_f64 v[5:6], v[5:6], v[12:13], v[5:6]
	v_div_scale_f64 v[12:13], vcc_lo, 1.0, v[1:2], 1.0
	v_mul_f64 v[14:15], v[12:13], v[5:6]
	v_fma_f64 v[3:4], -v[3:4], v[14:15], v[12:13]
	v_div_fmas_f64 v[3:4], v[3:4], v[5:6], v[14:15]
	v_div_fixup_f64 v[5:6], v[3:4], v[1:2], 1.0
	v_mul_f64 v[7:8], v[7:8], -v[5:6]
.LBB14_38:
	s_or_b32 exec_lo, exec_lo, s6
.LBB14_39:
	s_or_b32 exec_lo, exec_lo, s2
	s_branch .LBB14_41
.LBB14_40:
	v_mov_b32_e32 v7, 0
	v_mov_b32_e32 v5, 0
	;; [unrolled: 1-line block ×4, first 2 shown]
.LBB14_41:
	ds_write_b128 v10, v[5:8]
.LBB14_42:
	s_or_b32 exec_lo, exec_lo, s3
	s_waitcnt lgkmcnt(0)
	s_barrier
	buffer_gl0_inv
	s_and_saveexec_b32 s2, s1
	s_cbranch_execz .LBB14_54
; %bb.43:
	s_add_i32 s3, s26, 1
	v_lshlrev_b32_e32 v1, 4, v9
	v_mul_i32_i24_e32 v2, s3, v9
	s_lshl_b32 s3, s26, 4
	v_add_nc_u32_e32 v8, 16, v11
	s_add_i32 s6, s3, 16
	v_add_nc_u32_e32 v5, v11, v1
	v_add3_u32 v6, v1, s3, v11
	v_lshl_add_u32 v7, v2, 4, v11
	s_mov_b32 s8, 0
	s_branch .LBB14_45
.LBB14_44:                              ;   in Loop: Header=BB14_45 Depth=1
	s_inst_prefetch 0x2
	v_add_nc_u32_e32 v6, s3, v6
	v_add_nc_u32_e32 v8, s6, v8
	s_cmp_eq_u32 s8, s26
	s_cbranch_scc1 .LBB14_54
.LBB14_45:                              ; =>This Loop Header: Depth=1
                                        ;     Child Loop BB14_50 Depth 2
	v_mov_b32_e32 v1, 0
	v_mov_b32_e32 v3, 0
	;; [unrolled: 1-line block ×4, first 2 shown]
	s_mul_i32 s9, s8, s26
	s_mov_b32 s10, exec_lo
	v_cmpx_lt_i32_e64 s8, v9
	s_cbranch_execz .LBB14_47
; %bb.46:                               ;   in Loop: Header=BB14_45 Depth=1
	s_lshl_b32 s11, s9, 4
	s_lshl_b32 s17, s8, 4
	v_add_nc_u32_e32 v10, s11, v5
	v_add3_u32 v1, s11, s17, v11
	ds_read_b128 v[1:4], v1
	ds_read_b128 v[12:15], v10
	s_waitcnt lgkmcnt(0)
	v_mul_f64 v[16:17], v[3:4], v[14:15]
	v_mul_f64 v[14:15], v[1:2], v[14:15]
	v_fma_f64 v[1:2], v[1:2], v[12:13], -v[16:17]
	v_fma_f64 v[3:4], v[3:4], v[12:13], v[14:15]
	v_add_f64 v[1:2], v[1:2], 0
	v_add_f64 v[3:4], v[3:4], 0
.LBB14_47:                              ;   in Loop: Header=BB14_45 Depth=1
	s_or_b32 exec_lo, exec_lo, s10
	s_add_i32 s8, s8, 1
	s_cmp_ge_u32 s8, s26
	s_cbranch_scc1 .LBB14_44
; %bb.48:                               ;   in Loop: Header=BB14_45 Depth=1
	v_lshl_add_u32 v10, s9, 4, v5
	v_mov_b32_e32 v12, v8
	v_mov_b32_e32 v13, v6
	s_mov_b32 s9, s8
	s_inst_prefetch 0x1
	s_branch .LBB14_50
	.p2align	6
.LBB14_49:                              ;   in Loop: Header=BB14_50 Depth=2
	s_or_b32 exec_lo, exec_lo, s10
	v_add_nc_u32_e32 v13, s3, v13
	v_add_nc_u32_e32 v12, 16, v12
	s_add_i32 s9, s9, 1
	s_cmp_eq_u32 s26, s9
	s_cbranch_scc1 .LBB14_44
.LBB14_50:                              ;   Parent Loop BB14_45 Depth=1
                                        ; =>  This Inner Loop Header: Depth=2
	s_mov_b32 s10, exec_lo
	v_cmpx_eq_u32_e64 s9, v9
	s_cbranch_execz .LBB14_52
; %bb.51:                               ;   in Loop: Header=BB14_50 Depth=2
	ds_read_b128 v[14:17], v7
	v_add_f64 v[18:19], -v[1:2], 0
	s_waitcnt lgkmcnt(0)
	v_mul_f64 v[20:21], v[3:4], v[16:17]
	v_mul_f64 v[22:23], v[3:4], v[14:15]
	v_fma_f64 v[14:15], v[18:19], v[14:15], v[20:21]
	v_fma_f64 v[16:17], v[18:19], v[16:17], -v[22:23]
	ds_write_b128 v10, v[14:17]
.LBB14_52:                              ;   in Loop: Header=BB14_50 Depth=2
	s_or_b32 exec_lo, exec_lo, s10
	s_mov_b32 s10, exec_lo
	v_cmpx_lt_i32_e64 s9, v9
	s_cbranch_execz .LBB14_49
; %bb.53:                               ;   in Loop: Header=BB14_50 Depth=2
	ds_read_b128 v[14:17], v12
	ds_read_b128 v[18:21], v13
	s_waitcnt lgkmcnt(0)
	v_mul_f64 v[22:23], v[16:17], v[20:21]
	v_mul_f64 v[20:21], v[14:15], v[20:21]
	v_fma_f64 v[14:15], v[14:15], v[18:19], -v[22:23]
	v_fma_f64 v[16:17], v[16:17], v[18:19], v[20:21]
	v_add_f64 v[1:2], v[1:2], v[14:15]
	v_add_f64 v[3:4], v[3:4], v[16:17]
	s_branch .LBB14_49
.LBB14_54:
	s_or_b32 exec_lo, exec_lo, s2
	s_and_b32 s2, s26, 0xffff
	v_cvt_f32_ubyte0_e32 v3, v0
	v_cvt_f32_u32_e32 v1, s2
	s_mul_i32 s2, s26, s26
	s_cmpk_lg_i32 s16, 0x7a
	v_cmp_gt_u32_e64 s2, s2, v0
	s_cselect_b32 s3, -1, 0
	v_rcp_iflag_f32_e32 v2, v1
	s_mov_b32 s6, 0
	s_waitcnt lgkmcnt(0)
	s_barrier
	buffer_gl0_inv
	v_mul_f32_e32 v2, v3, v2
	v_trunc_f32_e32 v2, v2
	v_fma_f32 v3, -v2, v1, v3
	v_cvt_u32_f32_e32 v2, v2
	v_cmp_ge_f32_e64 vcc_lo, |v3|, v1
	v_add_co_ci_u32_e64 v1, null, 0, v2, vcc_lo
	s_and_b32 vcc_lo, exec_lo, s3
	v_mul_lo_u16 v2, v1, s26
	v_and_b32_e32 v7, 0xffff, v1
	v_sub_nc_u16 v2, v0, v2
	v_and_b32_e32 v6, 0xffff, v2
	s_cbranch_vccz .LBB14_60
; %bb.55:
	s_mov_b32 s8, 0
                                        ; implicit-def: $vgpr0_vgpr1
                                        ; implicit-def: $vgpr4
	s_and_saveexec_b32 s9, s2
	s_cbranch_execz .LBB14_59
; %bb.56:
	v_lshlrev_b32_e32 v4, 8, v7
	v_mov_b32_e32 v0, 0
	v_mov_b32_e32 v2, 0
	v_lshlrev_b32_e32 v5, 4, v6
	v_mov_b32_e32 v1, 0
	v_mov_b32_e32 v3, 0
	v_sub_nc_u32_e32 v8, 0x3ff0, v4
	s_mov_b32 s10, -1
	.p2align	6
.LBB14_57:                              ; =>This Inner Loop Header: Depth=1
	ds_read_b128 v[12:15], v8
	ds_read_b128 v[16:19], v5
	s_add_i32 s10, s10, 1
	v_add_nc_u32_e32 v8, -16, v8
	v_cmp_ge_u32_e32 vcc_lo, s10, v7
	v_add_nc_u32_e32 v5, 0x100, v5
	s_or_b32 s6, vcc_lo, s6
	s_waitcnt lgkmcnt(0)
	v_mul_f64 v[20:21], v[14:15], v[18:19]
	v_mul_f64 v[18:19], v[12:13], v[18:19]
	v_fma_f64 v[12:13], v[12:13], v[16:17], -v[20:21]
	v_fma_f64 v[14:15], v[14:15], v[16:17], v[18:19]
	v_add_f64 v[2:3], v[2:3], v[12:13]
	v_add_f64 v[0:1], v[0:1], v[14:15]
	s_andn2_b32 exec_lo, exec_lo, s6
	s_cbranch_execnz .LBB14_57
; %bb.58:
	s_or_b32 exec_lo, exec_lo, s6
	v_lshl_add_u32 v5, v6, 4, v4
	s_mov_b32 s6, exec_lo
	v_add_nc_u32_e32 v4, 0x1000, v5
	ds_write_b64 v5, v[2:3] offset:4096
.LBB14_59:
	s_or_b32 exec_lo, exec_lo, s9
	s_and_b32 vcc_lo, exec_lo, s8
	s_cbranch_vccnz .LBB14_61
	s_branch .LBB14_70
.LBB14_60:
                                        ; implicit-def: $vgpr0_vgpr1
                                        ; implicit-def: $vgpr4
	s_cbranch_execz .LBB14_70
.LBB14_61:
                                        ; implicit-def: $vgpr0_vgpr1
                                        ; implicit-def: $vgpr4
	s_and_saveexec_b32 s8, s2
	s_cbranch_execz .LBB14_69
; %bb.62:
	v_lshlrev_b32_e32 v4, 8, v7
	s_mov_b32 s9, exec_lo
	v_cmpx_lt_u16_e32 15, v7
	s_xor_b32 s9, exec_lo, s9
; %bb.63:
	v_lshlrev_b32_e32 v4, 8, v7
; %bb.64:
	s_or_saveexec_b32 s9, s9
	v_mov_b32_e32 v0, 0
	v_mov_b32_e32 v2, 0
	;; [unrolled: 1-line block ×4, first 2 shown]
	s_xor_b32 exec_lo, exec_lo, s9
	s_cbranch_execz .LBB14_68
; %bb.65:
	s_movk_i32 s10, 0x110
	v_mov_b32_e32 v0, 0
	v_mov_b32_e32 v2, 0
	v_add_nc_u32_e32 v5, -1, v7
	v_mad_u32_u24 v8, v7, s10, 0x2000
	v_mov_b32_e32 v1, 0
	v_mov_b32_e32 v3, 0
	v_lshl_add_u32 v10, v6, 4, v4
	s_mov_b32 s10, 0
	.p2align	6
.LBB14_66:                              ; =>This Inner Loop Header: Depth=1
	ds_read_b128 v[12:15], v8
	ds_read_b128 v[16:19], v10
	v_add_nc_u32_e32 v5, 1, v5
	v_add_nc_u32_e32 v8, 16, v8
	;; [unrolled: 1-line block ×3, first 2 shown]
	v_cmp_lt_u32_e32 vcc_lo, 14, v5
	s_or_b32 s10, vcc_lo, s10
	s_waitcnt lgkmcnt(0)
	v_mul_f64 v[20:21], v[14:15], v[18:19]
	v_mul_f64 v[18:19], v[12:13], v[18:19]
	v_fma_f64 v[12:13], v[12:13], v[16:17], -v[20:21]
	v_fma_f64 v[14:15], v[14:15], v[16:17], v[18:19]
	v_add_f64 v[2:3], v[2:3], v[12:13]
	v_add_f64 v[0:1], v[0:1], v[14:15]
	s_andn2_b32 exec_lo, exec_lo, s10
	s_cbranch_execnz .LBB14_66
; %bb.67:
	s_or_b32 exec_lo, exec_lo, s10
.LBB14_68:
	s_or_b32 exec_lo, exec_lo, s9
	v_lshl_add_u32 v5, v6, 4, v4
	s_or_b32 s6, s6, exec_lo
	v_add_nc_u32_e32 v4, 0x1000, v5
	ds_write_b64 v5, v[2:3] offset:4096
.LBB14_69:
	s_or_b32 exec_lo, exec_lo, s8
.LBB14_70:
	s_and_saveexec_b32 s8, s6
; %bb.71:
	ds_write_b64 v4, v[0:1] offset:8
; %bb.72:
	s_or_b32 exec_lo, exec_lo, s8
	s_clause 0x1
	s_load_dwordx4 s[16:19], s[4:5], 0x50
	s_load_dword s4, s[4:5], 0x48
	s_waitcnt lgkmcnt(0)
	s_barrier
	buffer_gl0_inv
	s_mul_i32 s5, s17, s7
	s_mul_hi_u32 s8, s16, s7
	s_mul_i32 s6, s16, s7
	s_add_i32 s7, s8, s5
	s_ashr_i32 s5, s4, 31
	s_lshl_b64 s[8:9], s[6:7], 4
	s_mul_i32 s17, s19, s28
	s_add_u32 s10, s12, s8
	s_addc_u32 s11, s13, s9
	s_lshl_b64 s[6:7], s[14:15], 4
	s_mul_hi_u32 s19, s18, s28
	s_add_u32 s15, s10, s6
	s_addc_u32 s16, s11, s7
	s_lshl_b64 s[10:11], s[4:5], 5
	s_add_u32 s10, s10, 32
	s_addc_u32 s11, s11, 0
	s_mul_hi_u32 s14, s10, s29
	s_mul_i32 s11, s11, s29
	s_mul_i32 s10, s10, s29
	s_add_i32 s11, s14, s11
	s_mul_i32 s14, s18, s28
	s_lshl_b64 s[10:11], s[10:11], 4
	s_add_u32 s18, s15, s10
	s_addc_u32 s20, s16, s11
	s_add_i32 s15, s19, s17
	s_lshl_b64 s[14:15], s[14:15], 4
	s_add_u32 s16, s18, s14
	s_addc_u32 s17, s20, s15
	s_and_b32 vcc_lo, exec_lo, s3
	s_cbranch_vccz .LBB14_78
; %bb.73:
	s_mov_b32 s19, 0
	s_mov_b32 s18, 0
                                        ; implicit-def: $vgpr0_vgpr1
                                        ; implicit-def: $vgpr2_vgpr3
	s_and_saveexec_b32 s20, s2
	s_cbranch_execz .LBB14_77
; %bb.74:
	v_lshlrev_b32_e32 v2, 4, v6
	s_lshl_b32 s21, s26, 4
	v_mul_u32_u24_e32 v1, s26, v7
	v_mov_b32_e32 v4, 0
	v_add_nc_u32_e32 v3, -1, v6
	v_sub_nc_u32_e32 v0, s21, v2
	v_mov_b32_e32 v5, 0
	v_lshlrev_b32_e32 v1, 4, v1
	s_sub_i32 s21, 0, s21
	v_mul_i32_i24_e32 v0, s26, v0
	v_add3_u32 v8, v1, v2, 0x1000
	v_sub_nc_u32_e32 v10, v0, v2
	v_mov_b32_e32 v0, 0
	v_mov_b32_e32 v1, 0
	v_add_nc_u32_e32 v10, 0x1ff0, v10
	.p2align	6
.LBB14_75:                              ; =>This Inner Loop Header: Depth=1
	ds_read_b128 v[12:15], v10
	ds_read_b128 v[16:19], v8
	v_add_nc_u32_e32 v3, 1, v3
	v_add_nc_u32_e32 v8, 16, v8
	;; [unrolled: 1-line block ×3, first 2 shown]
	v_cmp_lt_u32_e32 vcc_lo, 14, v3
	s_or_b32 s18, vcc_lo, s18
	s_waitcnt lgkmcnt(0)
	v_mul_f64 v[20:21], v[12:13], v[16:17]
	v_mul_f64 v[12:13], v[12:13], v[18:19]
	v_fma_f64 v[18:19], v[14:15], v[18:19], -v[20:21]
	v_fma_f64 v[12:13], v[16:17], -v[14:15], -v[12:13]
	v_add_f64 v[4:5], v[4:5], v[18:19]
	v_add_f64 v[0:1], v[0:1], v[12:13]
	s_andn2_b32 exec_lo, exec_lo, s18
	s_cbranch_execnz .LBB14_75
; %bb.76:
	s_or_b32 exec_lo, exec_lo, s18
	v_mad_i64_i32 v[12:13], null, v7, s4, 0
	s_mul_hi_i32 s23, s26, s4
	s_mul_i32 s22, s26, s4
	s_mov_b32 s18, exec_lo
	s_lshl_b64 s[22:23], s[22:23], 4
	s_add_u32 s21, s16, s22
	v_lshlrev_b64 v[12:13], 4, v[12:13]
	s_addc_u32 s22, s17, s23
	v_add_co_u32 v2, s21, s21, v2
	v_add_co_ci_u32_e64 v3, null, s22, 0, s21
	v_add_co_u32 v2, vcc_lo, v2, v12
	v_add_co_ci_u32_e64 v3, null, v3, v13, vcc_lo
	global_store_dwordx2 v[2:3], v[4:5], off
.LBB14_77:
	s_or_b32 exec_lo, exec_lo, s20
	s_and_b32 vcc_lo, exec_lo, s19
	s_cbranch_vccnz .LBB14_79
	s_branch .LBB14_84
.LBB14_78:
	s_mov_b32 s18, 0
                                        ; implicit-def: $vgpr0_vgpr1
                                        ; implicit-def: $vgpr2_vgpr3
	s_cbranch_execz .LBB14_84
.LBB14_79:
                                        ; implicit-def: $vgpr0_vgpr1
                                        ; implicit-def: $vgpr2_vgpr3
	s_and_saveexec_b32 s19, s2
	s_cbranch_execz .LBB14_83
; %bb.80:
	v_mul_u32_u24_e32 v3, s26, v7
	v_mov_b32_e32 v4, 0
	v_mov_b32_e32 v0, 0
	v_lshl_add_u32 v2, v6, 4, 0x3000
	v_mov_b32_e32 v5, 0
	v_mov_b32_e32 v1, 0
	v_lshl_add_u32 v3, v3, 4, 0x1000
	s_lshl_b32 s2, s26, 4
	s_mov_b32 s21, -1
	s_mov_b32 s20, 0
	.p2align	6
.LBB14_81:                              ; =>This Inner Loop Header: Depth=1
	ds_read_b128 v[12:15], v2
	ds_read_b128 v[16:19], v3
	s_add_i32 s21, s21, 1
	v_add_nc_u32_e32 v3, 16, v3
	v_cmp_ge_u32_e32 vcc_lo, s21, v6
	v_add_nc_u32_e32 v2, s2, v2
	s_or_b32 s20, vcc_lo, s20
	s_waitcnt lgkmcnt(0)
	v_mul_f64 v[20:21], v[12:13], v[16:17]
	v_mul_f64 v[12:13], v[12:13], v[18:19]
	v_fma_f64 v[18:19], v[14:15], v[18:19], -v[20:21]
	v_fma_f64 v[12:13], v[16:17], -v[14:15], -v[12:13]
	v_add_f64 v[4:5], v[4:5], v[18:19]
	v_add_f64 v[0:1], v[0:1], v[12:13]
	s_andn2_b32 exec_lo, exec_lo, s20
	s_cbranch_execnz .LBB14_81
; %bb.82:
	s_or_b32 exec_lo, exec_lo, s20
	v_mad_i64_i32 v[2:3], null, v7, s4, 0
	v_add_lshl_u32 v6, s26, v6, 4
	s_or_b32 s18, s18, exec_lo
	v_lshlrev_b64 v[2:3], 4, v[2:3]
	v_add_co_u32 v2, vcc_lo, s16, v2
	v_add_co_ci_u32_e64 v3, null, s17, v3, vcc_lo
	v_add_co_u32 v2, vcc_lo, v2, v6
	v_add_co_ci_u32_e64 v3, null, 0, v3, vcc_lo
	global_store_dwordx2 v[2:3], v[4:5], off
.LBB14_83:
	s_or_b32 exec_lo, exec_lo, s19
.LBB14_84:
	s_and_saveexec_b32 s2, s18
	s_cbranch_execz .LBB14_86
; %bb.85:
	global_store_dwordx2 v[2:3], v[0:1], off offset:8
.LBB14_86:
	s_or_b32 exec_lo, exec_lo, s2
	s_and_saveexec_b32 s2, s1
	s_cbranch_execz .LBB14_98
; %bb.87:
	v_mov_b32_e32 v0, 0
	v_mov_b32_e32 v1, 0
	s_and_saveexec_b32 s1, s0
	s_cbranch_execnz .LBB14_90
; %bb.88:
	s_or_b32 exec_lo, exec_lo, s1
	s_and_b32 vcc_lo, exec_lo, s3
	s_mov_b32 s0, -1
	s_cbranch_vccnz .LBB14_91
.LBB14_89:
	s_andn2_b32 vcc_lo, exec_lo, s0
	s_cbranch_vccz .LBB14_95
	s_branch .LBB14_98
.LBB14_90:
	s_add_u32 s0, s4, 1
	s_addc_u32 s2, s5, 0
	s_mul_hi_u32 s18, s0, s26
	s_mul_i32 s2, s2, s26
	s_add_i32 s19, s18, s2
	s_mul_i32 s18, s0, s26
	v_mov_b32_e32 v0, s18
	v_mov_b32_e32 v1, s19
	s_or_b32 exec_lo, exec_lo, s1
	s_and_b32 vcc_lo, exec_lo, s3
	s_mov_b32 s0, -1
	s_cbranch_vccz .LBB14_89
.LBB14_91:
	s_mov_b32 s1, exec_lo
	v_cmpx_gt_i32_e64 s26, v9
	s_cbranch_execz .LBB14_94
; %bb.92:
	s_cmp_lt_u32 s27, 16
	v_xad_u32 v2, v9, -1, s26
	s_cselect_b32 s0, s27, 16
	s_cselect_b32 s2, 0, 0
	s_add_u32 s0, s0, -1
	s_addc_u32 s2, s2, -1
	s_mul_i32 s3, s0, s5
	s_mul_hi_u32 s18, s0, s4
	s_mul_i32 s2, s2, s4
	s_add_i32 s3, s18, s3
	v_lshl_add_u32 v4, v2, 4, v11
	s_add_i32 s3, s3, s2
	s_mul_i32 s2, s0, s4
	v_ashrrev_i32_e32 v10, 31, v9
	s_lshl_b64 s[2:3], s[2:3], 4
	v_lshlrev_b64 v[2:3], 4, v[0:1]
	s_add_u32 s0, s2, s14
	s_addc_u32 s2, s3, s15
	s_add_u32 s0, s0, s8
	s_addc_u32 s2, s2, s9
	;; [unrolled: 2-line block ×3, first 2 shown]
	s_add_u32 s0, s6, s0
	v_lshlrev_b64 v[5:6], 4, v[9:10]
	s_addc_u32 s2, s7, s2
	v_add_co_u32 v2, vcc_lo, s0, v2
	v_add_co_ci_u32_e64 v3, null, s2, v3, vcc_lo
	s_lshl_b64 s[6:7], s[4:5], 4
	v_add_co_u32 v2, vcc_lo, v2, v5
	v_add_co_ci_u32_e64 v3, null, v3, v6, vcc_lo
	s_sub_u32 s3, 0, s6
	v_add_co_u32 v2, vcc_lo, s12, v2
	v_add_co_ci_u32_e64 v3, null, s13, v3, vcc_lo
	s_mov_b32 s2, 0
	s_subb_u32 s6, 0, s7
	s_lshl_b32 s7, s26, 4
	s_mov_b32 s8, s26
.LBB14_93:                              ; =>This Inner Loop Header: Depth=1
	ds_read2_b64 v[5:8], v4 offset1:1
	s_add_i32 s8, s8, -1
	v_add_nc_u32_e32 v4, s7, v4
	v_cmp_le_i32_e32 vcc_lo, s8, v9
	s_or_b32 s2, vcc_lo, s2
	s_waitcnt lgkmcnt(0)
	global_store_dwordx4 v[2:3], v[5:8], off
	v_add_co_u32 v2, s0, v2, s3
	v_add_co_ci_u32_e64 v3, null, s6, v3, s0
	s_andn2_b32 exec_lo, exec_lo, s2
	s_cbranch_execnz .LBB14_93
.LBB14_94:
	s_or_b32 exec_lo, exec_lo, s1
	s_cbranch_execnz .LBB14_98
.LBB14_95:
	v_cmp_lt_i32_e32 vcc_lo, -1, v9
	s_and_b32 exec_lo, exec_lo, vcc_lo
	s_cbranch_execz .LBB14_98
; %bb.96:
	v_mov_b32_e32 v10, 0
	v_lshlrev_b64 v[0:1], 4, v[0:1]
	v_lshl_add_u32 v2, v9, 4, v11
	s_lshl_b64 s[2:3], s[4:5], 4
	s_lshl_b32 s1, s26, 4
	v_lshlrev_b64 v[3:4], 4, v[9:10]
	s_mov_b32 s4, 0
	v_add_co_u32 v0, vcc_lo, s16, v0
	v_add_co_ci_u32_e64 v1, null, s17, v1, vcc_lo
	v_add_co_u32 v0, vcc_lo, v0, v3
	v_add_co_ci_u32_e64 v1, null, v1, v4, vcc_lo
	v_add_nc_u32_e32 v3, 1, v9
.LBB14_97:                              ; =>This Inner Loop Header: Depth=1
	ds_read2_b64 v[4:7], v2 offset1:1
	v_add_nc_u32_e32 v3, -1, v3
	v_add_nc_u32_e32 v2, s1, v2
	v_cmp_eq_u32_e32 vcc_lo, 0, v3
	s_or_b32 s4, vcc_lo, s4
	s_waitcnt lgkmcnt(0)
	global_store_dwordx4 v[0:1], v[4:7], off
	v_add_co_u32 v0, s0, v0, s2
	v_add_co_ci_u32_e64 v1, null, s3, v1, s0
	s_andn2_b32 exec_lo, exec_lo, s4
	s_cbranch_execnz .LBB14_97
.LBB14_98:
	s_endpgm
	.section	.rodata,"a",@progbits
	.p2align	6, 0x0
	.amdhsa_kernel _ZL29rocblas_trtri_diagonal_kernelILi16E19rocblas_complex_numIdEPKS1_PS1_Ev13rocblas_fill_17rocblas_diagonal_iT1_lillT2_lilli
		.amdhsa_group_segment_fixed_size 16384
		.amdhsa_private_segment_fixed_size 0
		.amdhsa_kernarg_size 100
		.amdhsa_user_sgpr_count 6
		.amdhsa_user_sgpr_private_segment_buffer 1
		.amdhsa_user_sgpr_dispatch_ptr 0
		.amdhsa_user_sgpr_queue_ptr 0
		.amdhsa_user_sgpr_kernarg_segment_ptr 1
		.amdhsa_user_sgpr_dispatch_id 0
		.amdhsa_user_sgpr_flat_scratch_init 0
		.amdhsa_user_sgpr_private_segment_size 0
		.amdhsa_wavefront_size32 1
		.amdhsa_uses_dynamic_stack 0
		.amdhsa_system_sgpr_private_segment_wavefront_offset 0
		.amdhsa_system_sgpr_workgroup_id_x 1
		.amdhsa_system_sgpr_workgroup_id_y 0
		.amdhsa_system_sgpr_workgroup_id_z 1
		.amdhsa_system_sgpr_workgroup_info 0
		.amdhsa_system_vgpr_workitem_id 0
		.amdhsa_next_free_vgpr 24
		.amdhsa_next_free_sgpr 40
		.amdhsa_reserve_vcc 1
		.amdhsa_reserve_flat_scratch 0
		.amdhsa_float_round_mode_32 0
		.amdhsa_float_round_mode_16_64 0
		.amdhsa_float_denorm_mode_32 3
		.amdhsa_float_denorm_mode_16_64 3
		.amdhsa_dx10_clamp 1
		.amdhsa_ieee_mode 1
		.amdhsa_fp16_overflow 0
		.amdhsa_workgroup_processor_mode 1
		.amdhsa_memory_ordered 1
		.amdhsa_forward_progress 1
		.amdhsa_shared_vgpr_count 0
		.amdhsa_exception_fp_ieee_invalid_op 0
		.amdhsa_exception_fp_denorm_src 0
		.amdhsa_exception_fp_ieee_div_zero 0
		.amdhsa_exception_fp_ieee_overflow 0
		.amdhsa_exception_fp_ieee_underflow 0
		.amdhsa_exception_fp_ieee_inexact 0
		.amdhsa_exception_int_div_zero 0
	.end_amdhsa_kernel
	.section	.text._ZL29rocblas_trtri_diagonal_kernelILi16E19rocblas_complex_numIdEPKS1_PS1_Ev13rocblas_fill_17rocblas_diagonal_iT1_lillT2_lilli,"axG",@progbits,_ZL29rocblas_trtri_diagonal_kernelILi16E19rocblas_complex_numIdEPKS1_PS1_Ev13rocblas_fill_17rocblas_diagonal_iT1_lillT2_lilli,comdat
.Lfunc_end14:
	.size	_ZL29rocblas_trtri_diagonal_kernelILi16E19rocblas_complex_numIdEPKS1_PS1_Ev13rocblas_fill_17rocblas_diagonal_iT1_lillT2_lilli, .Lfunc_end14-_ZL29rocblas_trtri_diagonal_kernelILi16E19rocblas_complex_numIdEPKS1_PS1_Ev13rocblas_fill_17rocblas_diagonal_iT1_lillT2_lilli
                                        ; -- End function
	.set _ZL29rocblas_trtri_diagonal_kernelILi16E19rocblas_complex_numIdEPKS1_PS1_Ev13rocblas_fill_17rocblas_diagonal_iT1_lillT2_lilli.num_vgpr, 24
	.set _ZL29rocblas_trtri_diagonal_kernelILi16E19rocblas_complex_numIdEPKS1_PS1_Ev13rocblas_fill_17rocblas_diagonal_iT1_lillT2_lilli.num_agpr, 0
	.set _ZL29rocblas_trtri_diagonal_kernelILi16E19rocblas_complex_numIdEPKS1_PS1_Ev13rocblas_fill_17rocblas_diagonal_iT1_lillT2_lilli.numbered_sgpr, 40
	.set _ZL29rocblas_trtri_diagonal_kernelILi16E19rocblas_complex_numIdEPKS1_PS1_Ev13rocblas_fill_17rocblas_diagonal_iT1_lillT2_lilli.num_named_barrier, 0
	.set _ZL29rocblas_trtri_diagonal_kernelILi16E19rocblas_complex_numIdEPKS1_PS1_Ev13rocblas_fill_17rocblas_diagonal_iT1_lillT2_lilli.private_seg_size, 0
	.set _ZL29rocblas_trtri_diagonal_kernelILi16E19rocblas_complex_numIdEPKS1_PS1_Ev13rocblas_fill_17rocblas_diagonal_iT1_lillT2_lilli.uses_vcc, 1
	.set _ZL29rocblas_trtri_diagonal_kernelILi16E19rocblas_complex_numIdEPKS1_PS1_Ev13rocblas_fill_17rocblas_diagonal_iT1_lillT2_lilli.uses_flat_scratch, 0
	.set _ZL29rocblas_trtri_diagonal_kernelILi16E19rocblas_complex_numIdEPKS1_PS1_Ev13rocblas_fill_17rocblas_diagonal_iT1_lillT2_lilli.has_dyn_sized_stack, 0
	.set _ZL29rocblas_trtri_diagonal_kernelILi16E19rocblas_complex_numIdEPKS1_PS1_Ev13rocblas_fill_17rocblas_diagonal_iT1_lillT2_lilli.has_recursion, 0
	.set _ZL29rocblas_trtri_diagonal_kernelILi16E19rocblas_complex_numIdEPKS1_PS1_Ev13rocblas_fill_17rocblas_diagonal_iT1_lillT2_lilli.has_indirect_call, 0
	.section	.AMDGPU.csdata,"",@progbits
; Kernel info:
; codeLenInByte = 4428
; TotalNumSgprs: 42
; NumVgprs: 24
; ScratchSize: 0
; MemoryBound: 1
; FloatMode: 240
; IeeeMode: 1
; LDSByteSize: 16384 bytes/workgroup (compile time only)
; SGPRBlocks: 0
; VGPRBlocks: 2
; NumSGPRsForWavesPerEU: 42
; NumVGPRsForWavesPerEU: 24
; Occupancy: 16
; WaveLimiterHint : 0
; COMPUTE_PGM_RSRC2:SCRATCH_EN: 0
; COMPUTE_PGM_RSRC2:USER_SGPR: 6
; COMPUTE_PGM_RSRC2:TRAP_HANDLER: 0
; COMPUTE_PGM_RSRC2:TGID_X_EN: 1
; COMPUTE_PGM_RSRC2:TGID_Y_EN: 0
; COMPUTE_PGM_RSRC2:TGID_Z_EN: 1
; COMPUTE_PGM_RSRC2:TIDIG_COMP_CNT: 0
	.section	.text._ZL30rocblas_trtri_remainder_kernelILi16E19rocblas_complex_numIdEPKS1_PS1_Ev13rocblas_fill_17rocblas_diagonal_iT1_lillT2_lilli,"axG",@progbits,_ZL30rocblas_trtri_remainder_kernelILi16E19rocblas_complex_numIdEPKS1_PS1_Ev13rocblas_fill_17rocblas_diagonal_iT1_lillT2_lilli,comdat
	.globl	_ZL30rocblas_trtri_remainder_kernelILi16E19rocblas_complex_numIdEPKS1_PS1_Ev13rocblas_fill_17rocblas_diagonal_iT1_lillT2_lilli ; -- Begin function _ZL30rocblas_trtri_remainder_kernelILi16E19rocblas_complex_numIdEPKS1_PS1_Ev13rocblas_fill_17rocblas_diagonal_iT1_lillT2_lilli
	.p2align	8
	.type	_ZL30rocblas_trtri_remainder_kernelILi16E19rocblas_complex_numIdEPKS1_PS1_Ev13rocblas_fill_17rocblas_diagonal_iT1_lillT2_lilli,@function
_ZL30rocblas_trtri_remainder_kernelILi16E19rocblas_complex_numIdEPKS1_PS1_Ev13rocblas_fill_17rocblas_diagonal_iT1_lillT2_lilli: ; @_ZL30rocblas_trtri_remainder_kernelILi16E19rocblas_complex_numIdEPKS1_PS1_Ev13rocblas_fill_17rocblas_diagonal_iT1_lillT2_lilli
; %bb.0:
	s_load_dwordx4 s[16:19], s[4:5], 0x0
	s_waitcnt lgkmcnt(0)
	s_cmp_lt_i32 s18, 1
	s_cbranch_scc1 .LBB15_41
; %bb.1:
	s_load_dwordx8 s[8:15], s[4:5], 0x28
	v_cmp_le_u32_e64 s1, s18, v0
	v_cmp_gt_u32_e64 s0, s18, v0
	s_and_saveexec_b32 s3, s0
	s_cbranch_execz .LBB15_9
; %bb.2:
	s_clause 0x1
	s_load_dwordx4 s[20:23], s[4:5], 0x10
	s_load_dword s24, s[4:5], 0x20
	s_waitcnt lgkmcnt(0)
	s_mul_i32 s2, s9, s7
	s_mul_hi_u32 s9, s8, s7
	s_mul_i32 s8, s8, s7
	s_add_i32 s9, s9, s2
	s_mul_i32 s2, s11, s6
	s_mul_hi_u32 s11, s10, s6
	s_mul_i32 s10, s10, s6
	s_add_i32 s11, s11, s2
	s_cmpk_lg_i32 s16, 0x7a
	s_mov_b32 s2, -1
	s_cbranch_scc0 .LBB15_6
; %bb.3:
	s_add_i32 s2, s18, -1
	s_ashr_i32 s25, s24, 31
	s_lshl_b64 s[26:27], s[10:11], 4
	s_lshl_b64 s[28:29], s[8:9], 4
	s_lshl_b32 s19, s18, 4
	s_add_u32 s28, s26, s28
	s_mul_i32 s26, s25, s2
	s_mul_hi_u32 s30, s24, s2
	s_addc_u32 s29, s27, s29
	s_add_i32 s27, s30, s26
	s_mul_i32 s26, s24, s2
	v_sub_nc_u32_e32 v1, s2, v0
	s_lshl_b64 s[26:27], s[26:27], 4
	s_add_u32 s2, s28, s26
	s_addc_u32 s28, s29, s27
	s_lshl_b64 s[26:27], s[22:23], 4
	v_lshlrev_b32_e32 v3, 4, v1
	v_lshlrev_b32_e32 v1, 4, v0
	s_add_u32 s2, s2, s26
	s_addc_u32 s26, s28, s27
	s_add_u32 s2, s20, s2
	s_addc_u32 s28, s21, s26
	v_add_co_u32 v1, s2, s2, v1
	s_lshl_b64 s[26:27], s[24:25], 4
	v_add_co_ci_u32_e64 v2, null, s28, 0, s2
	s_sub_u32 s25, 0, s26
	s_subb_u32 s27, 0, s27
	s_mov_b32 s26, 0
	s_mov_b32 s28, s18
.LBB15_4:                               ; =>This Inner Loop Header: Depth=1
	global_load_dwordx4 v[4:7], v[1:2], off
	s_add_i32 s28, s28, -1
	v_add_co_u32 v1, vcc_lo, v1, s25
	v_cmp_le_u32_e64 s2, s28, v0
	v_add_co_ci_u32_e64 v2, null, s27, v2, vcc_lo
	s_or_b32 s26, s2, s26
	s_waitcnt vmcnt(0)
	ds_write2_b64 v3, v[4:5], v[6:7] offset1:1
	v_add_nc_u32_e32 v3, s19, v3
	s_andn2_b32 exec_lo, exec_lo, s26
	s_cbranch_execnz .LBB15_4
; %bb.5:
	s_or_b32 exec_lo, exec_lo, s26
	s_mov_b32 s2, 0
.LBB15_6:
	s_and_b32 vcc_lo, exec_lo, s2
	s_cbranch_vccz .LBB15_9
; %bb.7:
	s_lshl_b64 s[8:9], s[8:9], 4
	v_lshlrev_b32_e32 v3, 4, v0
	s_add_u32 s2, s20, s8
	s_addc_u32 s19, s21, s9
	s_lshl_b64 s[8:9], s[22:23], 4
	v_add_nc_u32_e32 v4, 1, v0
	s_add_u32 s2, s2, s8
	s_addc_u32 s19, s19, s9
	s_lshl_b64 s[8:9], s[10:11], 4
	s_mov_b32 s11, 0
	s_add_u32 s2, s2, s8
	s_addc_u32 s8, s19, s9
	v_add_co_u32 v1, s2, s2, v3
	v_add_co_ci_u32_e64 v2, null, s8, 0, s2
	s_ashr_i32 s25, s24, 31
	s_lshl_b32 s10, s18, 4
	s_lshl_b64 s[8:9], s[24:25], 4
.LBB15_8:                               ; =>This Inner Loop Header: Depth=1
	global_load_dwordx4 v[5:8], v[1:2], off
	v_add_nc_u32_e32 v4, -1, v4
	v_add_co_u32 v1, vcc_lo, v1, s8
	v_add_co_ci_u32_e64 v2, null, s9, v2, vcc_lo
	v_cmp_eq_u32_e64 s2, 0, v4
	s_or_b32 s11, s2, s11
	s_waitcnt vmcnt(0)
	ds_write2_b64 v3, v[5:6], v[7:8] offset1:1
	v_add_nc_u32_e32 v3, s10, v3
	s_andn2_b32 exec_lo, exec_lo, s11
	s_cbranch_execnz .LBB15_8
.LBB15_9:
	s_or_b32 exec_lo, exec_lo, s3
	s_waitcnt lgkmcnt(0)
	s_barrier
	buffer_gl0_inv
                                        ; implicit-def: $vgpr9
	s_and_saveexec_b32 s2, s1
	s_xor_b32 s1, exec_lo, s2
; %bb.10:
	v_mad_u64_u32 v[9:10], null, v0, s18, v[0:1]
; %bb.11:
	s_andn2_saveexec_b32 s2, s1
	s_cbranch_execz .LBB15_22
; %bb.12:
	v_mad_u64_u32 v[9:10], null, v0, s18, v[0:1]
	s_cmpk_eq_i32 s17, 0x84
	v_lshlrev_b32_e32 v10, 4, v9
	s_cbranch_scc1 .LBB15_20
; %bb.13:
	ds_read_b128 v[1:4], v10
	v_mov_b32_e32 v7, 0
	v_mov_b32_e32 v5, 0
	v_mov_b32_e32 v8, 0
	v_mov_b32_e32 v6, 0x3ff00000
	s_waitcnt lgkmcnt(0)
	v_cmp_neq_f64_e32 vcc_lo, 0, v[1:2]
	v_cmp_neq_f64_e64 s1, 0, v[3:4]
	s_or_b32 s3, vcc_lo, s1
	s_and_saveexec_b32 s1, s3
	s_cbranch_execz .LBB15_19
; %bb.14:
	v_cmp_ngt_f64_e64 s3, |v[1:2]|, |v[3:4]|
                                        ; implicit-def: $vgpr7_vgpr8
	s_and_saveexec_b32 s8, s3
	s_xor_b32 s3, exec_lo, s8
	s_cbranch_execz .LBB15_16
; %bb.15:
	v_div_scale_f64 v[5:6], null, v[3:4], v[3:4], v[1:2]
	v_div_scale_f64 v[13:14], vcc_lo, v[1:2], v[3:4], v[1:2]
	v_rcp_f64_e32 v[7:8], v[5:6]
	v_fma_f64 v[11:12], -v[5:6], v[7:8], 1.0
	v_fma_f64 v[7:8], v[7:8], v[11:12], v[7:8]
	v_fma_f64 v[11:12], -v[5:6], v[7:8], 1.0
	v_fma_f64 v[7:8], v[7:8], v[11:12], v[7:8]
	v_mul_f64 v[11:12], v[13:14], v[7:8]
	v_fma_f64 v[5:6], -v[5:6], v[11:12], v[13:14]
	v_div_fmas_f64 v[5:6], v[5:6], v[7:8], v[11:12]
	v_div_fixup_f64 v[5:6], v[5:6], v[3:4], v[1:2]
	v_fma_f64 v[1:2], v[1:2], v[5:6], v[3:4]
	v_div_scale_f64 v[3:4], null, v[1:2], v[1:2], 1.0
	v_rcp_f64_e32 v[7:8], v[3:4]
	v_fma_f64 v[11:12], -v[3:4], v[7:8], 1.0
	v_fma_f64 v[7:8], v[7:8], v[11:12], v[7:8]
	v_fma_f64 v[11:12], -v[3:4], v[7:8], 1.0
	v_fma_f64 v[7:8], v[7:8], v[11:12], v[7:8]
	v_div_scale_f64 v[11:12], vcc_lo, 1.0, v[1:2], 1.0
	v_mul_f64 v[13:14], v[11:12], v[7:8]
	v_fma_f64 v[3:4], -v[3:4], v[13:14], v[11:12]
	v_div_fmas_f64 v[3:4], v[3:4], v[7:8], v[13:14]
	v_div_fixup_f64 v[7:8], v[3:4], v[1:2], 1.0
                                        ; implicit-def: $vgpr1_vgpr2
	v_mul_f64 v[5:6], v[5:6], v[7:8]
	v_xor_b32_e32 v8, 0x80000000, v8
.LBB15_16:
	s_andn2_saveexec_b32 s3, s3
	s_cbranch_execz .LBB15_18
; %bb.17:
	v_div_scale_f64 v[5:6], null, v[1:2], v[1:2], v[3:4]
	v_div_scale_f64 v[13:14], vcc_lo, v[3:4], v[1:2], v[3:4]
	v_rcp_f64_e32 v[7:8], v[5:6]
	v_fma_f64 v[11:12], -v[5:6], v[7:8], 1.0
	v_fma_f64 v[7:8], v[7:8], v[11:12], v[7:8]
	v_fma_f64 v[11:12], -v[5:6], v[7:8], 1.0
	v_fma_f64 v[7:8], v[7:8], v[11:12], v[7:8]
	v_mul_f64 v[11:12], v[13:14], v[7:8]
	v_fma_f64 v[5:6], -v[5:6], v[11:12], v[13:14]
	v_div_fmas_f64 v[5:6], v[5:6], v[7:8], v[11:12]
	v_div_fixup_f64 v[7:8], v[5:6], v[1:2], v[3:4]
	v_fma_f64 v[1:2], v[3:4], v[7:8], v[1:2]
	v_div_scale_f64 v[3:4], null, v[1:2], v[1:2], 1.0
	v_rcp_f64_e32 v[5:6], v[3:4]
	v_fma_f64 v[11:12], -v[3:4], v[5:6], 1.0
	v_fma_f64 v[5:6], v[5:6], v[11:12], v[5:6]
	v_fma_f64 v[11:12], -v[3:4], v[5:6], 1.0
	v_fma_f64 v[5:6], v[5:6], v[11:12], v[5:6]
	v_div_scale_f64 v[11:12], vcc_lo, 1.0, v[1:2], 1.0
	v_mul_f64 v[13:14], v[11:12], v[5:6]
	v_fma_f64 v[3:4], -v[3:4], v[13:14], v[11:12]
	v_div_fmas_f64 v[3:4], v[3:4], v[5:6], v[13:14]
	v_div_fixup_f64 v[5:6], v[3:4], v[1:2], 1.0
	v_mul_f64 v[7:8], v[7:8], -v[5:6]
.LBB15_18:
	s_or_b32 exec_lo, exec_lo, s3
.LBB15_19:
	s_or_b32 exec_lo, exec_lo, s1
	s_branch .LBB15_21
.LBB15_20:
	v_mov_b32_e32 v7, 0
	v_mov_b32_e32 v5, 0
	;; [unrolled: 1-line block ×4, first 2 shown]
.LBB15_21:
	ds_write_b128 v10, v[5:8]
.LBB15_22:
	s_or_b32 exec_lo, exec_lo, s2
	v_lshlrev_b32_e32 v5, 4, v0
	s_lshl_b32 s1, s18, 4
	v_lshlrev_b32_e32 v6, 4, v9
	s_mov_b32 s2, 16
	s_add_i32 s3, s1, 16
	v_add_nc_u32_e32 v7, s1, v5
	s_mov_b32 s8, 0
	s_waitcnt lgkmcnt(0)
	s_barrier
	buffer_gl0_inv
	s_branch .LBB15_24
.LBB15_23:                              ;   in Loop: Header=BB15_24 Depth=1
	v_add_nc_u32_e32 v7, s1, v7
	s_add_i32 s2, s2, s3
	s_cmp_eq_u32 s8, s18
	s_barrier
	buffer_gl0_inv
	s_cbranch_scc1 .LBB15_33
.LBB15_24:                              ; =>This Loop Header: Depth=1
                                        ;     Child Loop BB15_29 Depth 2
	v_mov_b32_e32 v1, 0
	v_mov_b32_e32 v3, 0
	;; [unrolled: 1-line block ×4, first 2 shown]
	s_mul_i32 s9, s8, s18
	s_mov_b32 s10, exec_lo
	v_cmpx_lt_u32_e64 s8, v0
	s_cbranch_execz .LBB15_26
; %bb.25:                               ;   in Loop: Header=BB15_24 Depth=1
	s_lshl_b32 s11, s9, 4
	s_lshl_b32 s17, s8, 4
	v_add_nc_u32_e32 v8, s11, v5
	s_add_i32 s17, s17, s11
	v_mov_b32_e32 v1, s17
	ds_read_b128 v[1:4], v1
	ds_read_b128 v[8:11], v8
	s_waitcnt lgkmcnt(0)
	v_mul_f64 v[12:13], v[3:4], v[10:11]
	v_mul_f64 v[10:11], v[1:2], v[10:11]
	v_fma_f64 v[1:2], v[1:2], v[8:9], -v[12:13]
	v_fma_f64 v[3:4], v[3:4], v[8:9], v[10:11]
	v_add_f64 v[1:2], v[1:2], 0
	v_add_f64 v[3:4], v[3:4], 0
.LBB15_26:                              ;   in Loop: Header=BB15_24 Depth=1
	s_or_b32 exec_lo, exec_lo, s10
	s_add_i32 s8, s8, 1
	s_cmp_ge_i32 s8, s18
	s_barrier
	buffer_gl0_inv
	s_cbranch_scc1 .LBB15_23
; %bb.27:                               ;   in Loop: Header=BB15_24 Depth=1
	v_lshl_add_u32 v8, s9, 4, v5
	v_mov_b32_e32 v9, v7
	s_mov_b32 s9, s2
	s_mov_b32 s10, s8
	s_branch .LBB15_29
.LBB15_28:                              ;   in Loop: Header=BB15_29 Depth=2
	s_or_b32 exec_lo, exec_lo, s11
	v_add_nc_u32_e32 v9, s1, v9
	s_add_i32 s10, s10, 1
	s_add_i32 s9, s9, 16
	s_cmp_eq_u32 s18, s10
	s_barrier
	buffer_gl0_inv
	s_cbranch_scc1 .LBB15_23
.LBB15_29:                              ;   Parent Loop BB15_24 Depth=1
                                        ; =>  This Inner Loop Header: Depth=2
	s_mov_b32 s11, exec_lo
	v_cmpx_eq_u32_e64 s10, v0
	s_cbranch_execz .LBB15_31
; %bb.30:                               ;   in Loop: Header=BB15_29 Depth=2
	ds_read_b128 v[10:13], v6
	v_add_f64 v[14:15], -v[1:2], 0
	s_waitcnt lgkmcnt(0)
	v_mul_f64 v[16:17], v[3:4], v[12:13]
	v_mul_f64 v[18:19], v[3:4], v[10:11]
	v_fma_f64 v[10:11], v[14:15], v[10:11], v[16:17]
	v_fma_f64 v[12:13], v[14:15], v[12:13], -v[18:19]
	ds_write_b128 v8, v[10:13]
.LBB15_31:                              ;   in Loop: Header=BB15_29 Depth=2
	s_or_b32 exec_lo, exec_lo, s11
	s_mov_b32 s11, exec_lo
	s_waitcnt lgkmcnt(0)
	s_barrier
	buffer_gl0_inv
	v_cmpx_lt_u32_e64 s10, v0
	s_cbranch_execz .LBB15_28
; %bb.32:                               ;   in Loop: Header=BB15_29 Depth=2
	v_mov_b32_e32 v14, s9
	ds_read_b128 v[10:13], v9
	ds_read_b128 v[14:17], v14
	s_waitcnt lgkmcnt(0)
	v_mul_f64 v[18:19], v[16:17], v[12:13]
	v_mul_f64 v[12:13], v[14:15], v[12:13]
	v_fma_f64 v[14:15], v[14:15], v[10:11], -v[18:19]
	v_fma_f64 v[10:11], v[16:17], v[10:11], v[12:13]
	v_add_f64 v[1:2], v[1:2], v[14:15]
	v_add_f64 v[3:4], v[3:4], v[10:11]
	s_branch .LBB15_28
.LBB15_33:
	s_and_saveexec_b32 s2, s0
	s_cbranch_execz .LBB15_41
; %bb.34:
	s_clause 0x1
	s_load_dwordx4 s[8:11], s[4:5], 0x50
	s_load_dword s2, s[4:5], 0x48
	s_waitcnt lgkmcnt(0)
	s_mul_i32 s0, s9, s7
	s_mul_hi_u32 s3, s8, s7
	s_mul_i32 s4, s8, s7
	s_mul_i32 s7, s11, s6
	s_mul_hi_u32 s8, s10, s6
	s_add_i32 s5, s3, s0
	s_add_i32 s7, s8, s7
	s_mul_i32 s6, s10, s6
	s_cmpk_lg_i32 s16, 0x7a
	s_mov_b32 s0, -1
	s_cbranch_scc0 .LBB15_38
; %bb.35:
	s_add_i32 s0, s18, -1
	s_lshl_b64 s[8:9], s[6:7], 4
	s_lshl_b64 s[10:11], s[4:5], 4
	s_ashr_i32 s3, s2, 31
	s_add_u32 s10, s8, s10
	s_mul_i32 s8, s3, s0
	s_mul_hi_u32 s16, s2, s0
	s_addc_u32 s11, s9, s11
	s_add_i32 s9, s16, s8
	s_mul_i32 s8, s2, s0
	v_sub_nc_u32_e32 v1, s0, v0
	s_lshl_b64 s[8:9], s[8:9], 4
	s_add_u32 s0, s10, s8
	s_addc_u32 s10, s11, s9
	s_lshl_b64 s[8:9], s[14:15], 4
	v_lshlrev_b32_e32 v3, 4, v1
	v_lshlrev_b32_e32 v1, 4, v0
	s_add_u32 s0, s0, s8
	s_addc_u32 s8, s10, s9
	s_add_u32 s0, s12, s0
	s_addc_u32 s10, s13, s8
	v_add_co_u32 v1, s0, s0, v1
	s_lshl_b64 s[8:9], s[2:3], 4
	v_add_co_ci_u32_e64 v2, null, s10, 0, s0
	s_sub_u32 s3, 0, s8
	s_subb_u32 s9, 0, s9
	s_mov_b32 s8, 0
.LBB15_36:                              ; =>This Inner Loop Header: Depth=1
	ds_read2_b64 v[6:9], v3 offset1:1
	s_add_i32 s18, s18, -1
	v_add_nc_u32_e32 v3, s1, v3
	v_cmp_le_u32_e32 vcc_lo, s18, v0
	s_or_b32 s8, vcc_lo, s8
	s_waitcnt lgkmcnt(0)
	global_store_dwordx4 v[1:2], v[6:9], off
	v_add_co_u32 v1, s0, v1, s3
	v_add_co_ci_u32_e64 v2, null, s9, v2, s0
	s_andn2_b32 exec_lo, exec_lo, s8
	s_cbranch_execnz .LBB15_36
; %bb.37:
	s_or_b32 exec_lo, exec_lo, s8
	s_mov_b32 s0, 0
.LBB15_38:
	s_and_b32 vcc_lo, exec_lo, s0
	s_cbranch_vccz .LBB15_41
; %bb.39:
	s_lshl_b64 s[4:5], s[4:5], 4
	v_lshlrev_b32_e32 v1, 4, v0
	s_add_u32 s0, s12, s4
	s_addc_u32 s3, s13, s5
	s_lshl_b64 s[4:5], s[14:15], 4
	v_add_nc_u32_e32 v0, 1, v0
	s_add_u32 s0, s0, s4
	s_addc_u32 s3, s3, s5
	s_lshl_b64 s[4:5], s[6:7], 4
	s_add_u32 s0, s0, s4
	s_addc_u32 s4, s3, s5
	v_add_co_u32 v1, s0, s0, v1
	v_add_co_ci_u32_e64 v2, null, s4, 0, s0
	s_ashr_i32 s3, s2, 31
	s_mov_b32 s4, 0
	s_lshl_b64 s[2:3], s[2:3], 4
.LBB15_40:                              ; =>This Inner Loop Header: Depth=1
	ds_read2_b64 v[6:9], v5 offset1:1
	v_add_nc_u32_e32 v0, -1, v0
	v_add_nc_u32_e32 v5, s1, v5
	v_cmp_eq_u32_e32 vcc_lo, 0, v0
	s_or_b32 s4, vcc_lo, s4
	s_waitcnt lgkmcnt(0)
	global_store_dwordx4 v[1:2], v[6:9], off
	v_add_co_u32 v1, s0, v1, s2
	v_add_co_ci_u32_e64 v2, null, s3, v2, s0
	s_andn2_b32 exec_lo, exec_lo, s4
	s_cbranch_execnz .LBB15_40
.LBB15_41:
	s_endpgm
	.section	.rodata,"a",@progbits
	.p2align	6, 0x0
	.amdhsa_kernel _ZL30rocblas_trtri_remainder_kernelILi16E19rocblas_complex_numIdEPKS1_PS1_Ev13rocblas_fill_17rocblas_diagonal_iT1_lillT2_lilli
		.amdhsa_group_segment_fixed_size 16384
		.amdhsa_private_segment_fixed_size 0
		.amdhsa_kernarg_size 100
		.amdhsa_user_sgpr_count 6
		.amdhsa_user_sgpr_private_segment_buffer 1
		.amdhsa_user_sgpr_dispatch_ptr 0
		.amdhsa_user_sgpr_queue_ptr 0
		.amdhsa_user_sgpr_kernarg_segment_ptr 1
		.amdhsa_user_sgpr_dispatch_id 0
		.amdhsa_user_sgpr_flat_scratch_init 0
		.amdhsa_user_sgpr_private_segment_size 0
		.amdhsa_wavefront_size32 1
		.amdhsa_uses_dynamic_stack 0
		.amdhsa_system_sgpr_private_segment_wavefront_offset 0
		.amdhsa_system_sgpr_workgroup_id_x 1
		.amdhsa_system_sgpr_workgroup_id_y 0
		.amdhsa_system_sgpr_workgroup_id_z 1
		.amdhsa_system_sgpr_workgroup_info 0
		.amdhsa_system_vgpr_workitem_id 0
		.amdhsa_next_free_vgpr 20
		.amdhsa_next_free_sgpr 31
		.amdhsa_reserve_vcc 1
		.amdhsa_reserve_flat_scratch 0
		.amdhsa_float_round_mode_32 0
		.amdhsa_float_round_mode_16_64 0
		.amdhsa_float_denorm_mode_32 3
		.amdhsa_float_denorm_mode_16_64 3
		.amdhsa_dx10_clamp 1
		.amdhsa_ieee_mode 1
		.amdhsa_fp16_overflow 0
		.amdhsa_workgroup_processor_mode 1
		.amdhsa_memory_ordered 1
		.amdhsa_forward_progress 1
		.amdhsa_shared_vgpr_count 0
		.amdhsa_exception_fp_ieee_invalid_op 0
		.amdhsa_exception_fp_denorm_src 0
		.amdhsa_exception_fp_ieee_div_zero 0
		.amdhsa_exception_fp_ieee_overflow 0
		.amdhsa_exception_fp_ieee_underflow 0
		.amdhsa_exception_fp_ieee_inexact 0
		.amdhsa_exception_int_div_zero 0
	.end_amdhsa_kernel
	.section	.text._ZL30rocblas_trtri_remainder_kernelILi16E19rocblas_complex_numIdEPKS1_PS1_Ev13rocblas_fill_17rocblas_diagonal_iT1_lillT2_lilli,"axG",@progbits,_ZL30rocblas_trtri_remainder_kernelILi16E19rocblas_complex_numIdEPKS1_PS1_Ev13rocblas_fill_17rocblas_diagonal_iT1_lillT2_lilli,comdat
.Lfunc_end15:
	.size	_ZL30rocblas_trtri_remainder_kernelILi16E19rocblas_complex_numIdEPKS1_PS1_Ev13rocblas_fill_17rocblas_diagonal_iT1_lillT2_lilli, .Lfunc_end15-_ZL30rocblas_trtri_remainder_kernelILi16E19rocblas_complex_numIdEPKS1_PS1_Ev13rocblas_fill_17rocblas_diagonal_iT1_lillT2_lilli
                                        ; -- End function
	.set _ZL30rocblas_trtri_remainder_kernelILi16E19rocblas_complex_numIdEPKS1_PS1_Ev13rocblas_fill_17rocblas_diagonal_iT1_lillT2_lilli.num_vgpr, 20
	.set _ZL30rocblas_trtri_remainder_kernelILi16E19rocblas_complex_numIdEPKS1_PS1_Ev13rocblas_fill_17rocblas_diagonal_iT1_lillT2_lilli.num_agpr, 0
	.set _ZL30rocblas_trtri_remainder_kernelILi16E19rocblas_complex_numIdEPKS1_PS1_Ev13rocblas_fill_17rocblas_diagonal_iT1_lillT2_lilli.numbered_sgpr, 31
	.set _ZL30rocblas_trtri_remainder_kernelILi16E19rocblas_complex_numIdEPKS1_PS1_Ev13rocblas_fill_17rocblas_diagonal_iT1_lillT2_lilli.num_named_barrier, 0
	.set _ZL30rocblas_trtri_remainder_kernelILi16E19rocblas_complex_numIdEPKS1_PS1_Ev13rocblas_fill_17rocblas_diagonal_iT1_lillT2_lilli.private_seg_size, 0
	.set _ZL30rocblas_trtri_remainder_kernelILi16E19rocblas_complex_numIdEPKS1_PS1_Ev13rocblas_fill_17rocblas_diagonal_iT1_lillT2_lilli.uses_vcc, 1
	.set _ZL30rocblas_trtri_remainder_kernelILi16E19rocblas_complex_numIdEPKS1_PS1_Ev13rocblas_fill_17rocblas_diagonal_iT1_lillT2_lilli.uses_flat_scratch, 0
	.set _ZL30rocblas_trtri_remainder_kernelILi16E19rocblas_complex_numIdEPKS1_PS1_Ev13rocblas_fill_17rocblas_diagonal_iT1_lillT2_lilli.has_dyn_sized_stack, 0
	.set _ZL30rocblas_trtri_remainder_kernelILi16E19rocblas_complex_numIdEPKS1_PS1_Ev13rocblas_fill_17rocblas_diagonal_iT1_lillT2_lilli.has_recursion, 0
	.set _ZL30rocblas_trtri_remainder_kernelILi16E19rocblas_complex_numIdEPKS1_PS1_Ev13rocblas_fill_17rocblas_diagonal_iT1_lillT2_lilli.has_indirect_call, 0
	.section	.AMDGPU.csdata,"",@progbits
; Kernel info:
; codeLenInByte = 1912
; TotalNumSgprs: 33
; NumVgprs: 20
; ScratchSize: 0
; MemoryBound: 0
; FloatMode: 240
; IeeeMode: 1
; LDSByteSize: 16384 bytes/workgroup (compile time only)
; SGPRBlocks: 0
; VGPRBlocks: 2
; NumSGPRsForWavesPerEU: 33
; NumVGPRsForWavesPerEU: 20
; Occupancy: 16
; WaveLimiterHint : 0
; COMPUTE_PGM_RSRC2:SCRATCH_EN: 0
; COMPUTE_PGM_RSRC2:USER_SGPR: 6
; COMPUTE_PGM_RSRC2:TRAP_HANDLER: 0
; COMPUTE_PGM_RSRC2:TGID_X_EN: 1
; COMPUTE_PGM_RSRC2:TGID_Y_EN: 0
; COMPUTE_PGM_RSRC2:TGID_Z_EN: 1
; COMPUTE_PGM_RSRC2:TIDIG_COMP_CNT: 0
	.section	.text._ZL18rocblas_trtri_fillILi128EfPKPfEvP15_rocblas_handle13rocblas_fill_ililT1_llii,"axG",@progbits,_ZL18rocblas_trtri_fillILi128EfPKPfEvP15_rocblas_handle13rocblas_fill_ililT1_llii,comdat
	.globl	_ZL18rocblas_trtri_fillILi128EfPKPfEvP15_rocblas_handle13rocblas_fill_ililT1_llii ; -- Begin function _ZL18rocblas_trtri_fillILi128EfPKPfEvP15_rocblas_handle13rocblas_fill_ililT1_llii
	.p2align	8
	.type	_ZL18rocblas_trtri_fillILi128EfPKPfEvP15_rocblas_handle13rocblas_fill_ililT1_llii,@function
_ZL18rocblas_trtri_fillILi128EfPKPfEvP15_rocblas_handle13rocblas_fill_ililT1_llii: ; @_ZL18rocblas_trtri_fillILi128EfPKPfEvP15_rocblas_handle13rocblas_fill_ililT1_llii
; %bb.0:
	s_clause 0x1
	s_load_dword s1, s[4:5], 0x40
	s_load_dwordx2 s[2:3], s[4:5], 0x10
	s_mov_b32 s0, s7
	s_mov_b32 s7, 0
	s_lshl_b64 s[8:9], s[6:7], 7
	v_or_b32_e32 v0, s8, v0
	v_mov_b32_e32 v1, s9
	s_waitcnt lgkmcnt(0)
	s_ashr_i32 s6, s1, 31
	s_mul_hi_u32 s8, s2, s1
	s_mul_i32 s6, s2, s6
	s_mul_i32 s9, s3, s1
	s_add_i32 s6, s8, s6
	s_mul_i32 s12, s2, s1
	s_add_i32 s13, s6, s9
	s_mov_b32 s1, exec_lo
	v_cmpx_gt_u64_e64 s[12:13], v[0:1]
	s_cbranch_execz .LBB16_14
; %bb.1:
	s_clause 0x2
	s_load_dword s14, s[4:5], 0x18
	s_load_dwordx4 s[8:11], s[4:5], 0x20
	s_load_dwordx2 s[16:17], s[4:5], 0x30
	s_mov_b32 s1, s7
	v_cvt_f32_u32_e32 v2, s2
	s_lshl_b64 s[0:1], s[0:1], 3
	v_cvt_f32_u32_e32 v3, s3
	v_cvt_f32_u32_e32 v4, s2
	v_fmamk_f32 v2, v3, 0x4f800000, v2
	v_rcp_iflag_f32_e32 v3, v4
	v_rcp_f32_e32 v2, v2
	s_waitcnt lgkmcnt(0)
	s_ashr_i32 s15, s14, 31
	s_add_u32 s0, s10, s0
	s_addc_u32 s1, s11, s1
	v_mul_f32_e32 v3, 0x4f7ffffe, v3
	s_load_dwordx2 s[18:19], s[0:1], 0x0
	s_clause 0x2
	s_load_dwordx2 s[10:11], s[4:5], 0x8
	s_load_dword s0, s[4:5], 0x48
	s_load_dword s20, s[4:5], 0x54
	s_lshl_b64 s[4:5], s[16:17], 2
	v_mul_f32_e32 v4, 0x5f7ffffc, v2
	v_cvt_u32_f32_e32 v5, v3
	v_mul_f32_e32 v6, 0x2f800000, v4
	v_trunc_f32_e32 v6, v6
	v_fmamk_f32 v8, v6, 0xcf800000, v4
	s_waitcnt lgkmcnt(0)
	s_add_u32 s1, s18, s4
	s_addc_u32 s6, s19, s5
	s_add_i32 s4, s11, -1
	s_add_i32 s17, s11, -2
	s_mul_hi_i32 s5, s4, s11
	s_mul_i32 s4, s4, s11
	s_ashr_i32 s16, s11, 31
	s_lshl_b64 s[18:19], s[4:5], 2
	v_cvt_f64_i32_e32 v[2:3], s17
	s_add_u32 s17, s18, -7
	s_addc_u32 s18, s19, -1
	s_sub_i32 s19, 0, s2
	v_mov_b32_e32 v4, 0
	v_mul_lo_u32 v7, s19, v5
	v_cvt_u32_f32_e32 v9, v8
	v_cvt_u32_f32_e32 v10, v6
	s_and_b32 s20, s20, 0xffff
	s_lshr_b64 s[4:5], s[4:5], 1
	s_mul_hi_u32 s19, s20, s0
	s_mul_i32 s20, s20, s0
	v_mul_hi_u32 v7, v5, v7
	v_add_nc_u32_e32 v11, v5, v7
	s_branch .LBB16_3
.LBB16_2:                               ;   in Loop: Header=BB16_3 Depth=1
	v_add_co_u32 v0, vcc_lo, v0, s20
	v_add_co_ci_u32_e64 v1, null, s19, v1, vcc_lo
	v_cmp_le_u64_e32 vcc_lo, s[12:13], v[0:1]
	s_or_b32 s7, vcc_lo, s7
	s_andn2_b32 exec_lo, exec_lo, s7
	s_cbranch_execz .LBB16_14
.LBB16_3:                               ; =>This Inner Loop Header: Depth=1
	v_or_b32_e32 v5, s3, v1
	v_cmp_ne_u64_e32 vcc_lo, 0, v[4:5]
                                        ; implicit-def: $vgpr5_vgpr6
	s_and_saveexec_b32 s0, vcc_lo
	s_xor_b32 s21, exec_lo, s0
	s_cbranch_execz .LBB16_5
; %bb.4:                                ;   in Loop: Header=BB16_3 Depth=1
	v_readfirstlane_b32 s0, v9
	v_readfirstlane_b32 s22, v10
	s_sub_u32 s23, 0, s2
	s_subb_u32 s24, 0, s3
	s_mul_hi_u32 s25, s23, s0
	s_mul_i32 s26, s23, s22
	s_mul_i32 s27, s24, s0
	s_add_i32 s25, s25, s26
	s_mul_i32 s26, s23, s0
	s_add_i32 s25, s25, s27
	s_mul_hi_u32 s27, s0, s26
	s_mul_i32 s28, s0, s25
	s_mul_hi_u32 s29, s0, s25
	s_add_u32 s27, s27, s28
	s_mul_i32 s30, s22, s26
	s_addc_u32 s28, 0, s29
	s_mul_hi_u32 s26, s22, s26
	s_mul_hi_u32 s29, s22, s25
	s_add_u32 s27, s27, s30
	s_addc_u32 s26, s28, s26
	s_mul_i32 s25, s22, s25
	s_addc_u32 s27, s29, 0
	s_add_u32 s25, s26, s25
	s_addc_u32 s26, 0, s27
	s_add_u32 s0, s0, s25
	s_cselect_b32 s25, -1, 0
	s_mul_i32 s24, s24, s0
	s_cmp_lg_u32 s25, 0
	s_addc_u32 s22, s22, s26
	s_mul_hi_u32 s26, s23, s0
	s_mul_i32 s25, s23, s22
	s_mul_i32 s23, s23, s0
	s_add_i32 s25, s26, s25
	s_mul_hi_u32 s26, s22, s23
	s_add_i32 s25, s25, s24
	s_mul_i32 s27, s22, s23
	s_mul_i32 s28, s0, s25
	s_mul_hi_u32 s23, s0, s23
	s_mul_hi_u32 s29, s0, s25
	s_add_u32 s23, s23, s28
	s_addc_u32 s28, 0, s29
	s_mul_hi_u32 s24, s22, s25
	s_add_u32 s23, s23, s27
	s_addc_u32 s23, s28, s26
	s_mul_i32 s25, s22, s25
	s_addc_u32 s24, s24, 0
	s_add_u32 s23, s23, s25
	s_addc_u32 s24, 0, s24
	s_add_u32 s0, s0, s23
	s_cselect_b32 s23, -1, 0
	v_mul_hi_u32 v12, v0, s0
	s_cmp_lg_u32 s23, 0
	v_mad_u64_u32 v[7:8], null, v1, s0, 0
	s_addc_u32 s22, s22, s24
	v_mad_u64_u32 v[5:6], null, v0, s22, 0
	v_add_co_u32 v12, vcc_lo, v12, v5
	v_add_co_ci_u32_e64 v13, null, 0, v6, vcc_lo
	v_mad_u64_u32 v[5:6], null, v1, s22, 0
	v_add_co_u32 v7, vcc_lo, v12, v7
	v_add_co_ci_u32_e32 v7, vcc_lo, v13, v8, vcc_lo
	v_add_co_ci_u32_e32 v6, vcc_lo, 0, v6, vcc_lo
	v_add_co_u32 v7, vcc_lo, v7, v5
	v_add_co_ci_u32_e64 v8, null, 0, v6, vcc_lo
	v_mul_lo_u32 v12, s3, v7
	v_mad_u64_u32 v[5:6], null, s2, v7, 0
	v_mul_lo_u32 v13, s2, v8
	v_sub_co_u32 v5, vcc_lo, v0, v5
	v_add3_u32 v6, v6, v13, v12
	v_add_co_u32 v13, s0, v7, 2
	v_add_co_ci_u32_e64 v14, null, 0, v8, s0
	v_sub_nc_u32_e32 v12, v1, v6
	v_sub_co_u32 v15, s0, v5, s2
	v_sub_co_ci_u32_e64 v6, null, v1, v6, vcc_lo
	v_subrev_co_ci_u32_e64 v12, null, s3, v12, vcc_lo
	v_cmp_le_u32_e32 vcc_lo, s2, v15
	v_subrev_co_ci_u32_e64 v12, null, 0, v12, s0
	v_cndmask_b32_e64 v15, 0, -1, vcc_lo
	v_cmp_eq_u32_e64 s0, s3, v6
	v_cmp_le_u32_e32 vcc_lo, s3, v12
	v_cndmask_b32_e64 v16, 0, -1, vcc_lo
	v_cmp_le_u32_e32 vcc_lo, s2, v5
	v_cndmask_b32_e64 v5, 0, -1, vcc_lo
	;; [unrolled: 2-line block ×3, first 2 shown]
	v_cmp_eq_u32_e32 vcc_lo, s3, v12
	v_cndmask_b32_e64 v5, v17, v5, s0
	v_cndmask_b32_e32 v12, v16, v15, vcc_lo
	v_add_co_u32 v15, vcc_lo, v7, 1
	v_add_co_ci_u32_e64 v16, null, 0, v8, vcc_lo
	v_cmp_ne_u32_e32 vcc_lo, 0, v12
	v_cndmask_b32_e32 v6, v16, v14, vcc_lo
	v_cndmask_b32_e32 v12, v15, v13, vcc_lo
	v_cmp_ne_u32_e32 vcc_lo, 0, v5
	v_cndmask_b32_e32 v6, v8, v6, vcc_lo
	v_cndmask_b32_e32 v5, v7, v12, vcc_lo
.LBB16_5:                               ;   in Loop: Header=BB16_3 Depth=1
	s_andn2_saveexec_b32 s0, s21
	s_cbranch_execz .LBB16_7
; %bb.6:                                ;   in Loop: Header=BB16_3 Depth=1
	v_mul_hi_u32 v5, v0, v11
	v_mul_lo_u32 v6, v5, s2
	v_add_nc_u32_e32 v7, 1, v5
	v_sub_nc_u32_e32 v6, v0, v6
	v_subrev_nc_u32_e32 v8, s2, v6
	v_cmp_le_u32_e32 vcc_lo, s2, v6
	v_cndmask_b32_e32 v6, v6, v8, vcc_lo
	v_cndmask_b32_e32 v5, v5, v7, vcc_lo
	v_cmp_le_u32_e32 vcc_lo, s2, v6
	v_add_nc_u32_e32 v7, 1, v5
	v_mov_b32_e32 v6, v4
	v_cndmask_b32_e32 v5, v5, v7, vcc_lo
.LBB16_7:                               ;   in Loop: Header=BB16_3 Depth=1
	s_or_b32 exec_lo, exec_lo, s0
	v_mul_lo_u32 v12, v6, s2
	v_mul_lo_u32 v13, v5, s3
	v_mad_u64_u32 v[7:8], null, v5, s2, 0
	s_cmpk_lt_i32 s10, 0x7a
	s_mov_b32 s0, -1
	v_add3_u32 v8, v8, v13, v12
	v_sub_co_u32 v7, vcc_lo, v0, v7
	v_sub_co_ci_u32_e64 v8, null, v1, v8, vcc_lo
	s_cbranch_scc1 .LBB16_11
; %bb.8:                                ;   in Loop: Header=BB16_3 Depth=1
	s_cmpk_eq_i32 s10, 0x7a
	s_cbranch_scc0 .LBB16_10
; %bb.9:                                ;   in Loop: Header=BB16_3 Depth=1
	v_lshlrev_b64 v[12:13], 3, v[7:8]
	v_sub_co_u32 v14, vcc_lo, s17, v12
	v_sub_co_ci_u32_e64 v12, null, s18, v13, vcc_lo
	v_cvt_f64_u32_e32 v[14:15], v14
	v_cvt_f64_u32_e32 v[12:13], v12
	v_ldexp_f64 v[12:13], v[12:13], 32
	v_add_f64 v[12:13], v[12:13], v[14:15]
	v_cmp_gt_f64_e32 vcc_lo, 0x10000000, v[12:13]
	v_cndmask_b32_e64 v14, 0, 0x100, vcc_lo
	v_ldexp_f64 v[12:13], v[12:13], v14
	v_rsq_f64_e32 v[14:15], v[12:13]
	v_mul_f64 v[16:17], v[12:13], v[14:15]
	v_mul_f64 v[14:15], v[14:15], 0.5
	v_fma_f64 v[18:19], -v[14:15], v[16:17], 0.5
	v_fma_f64 v[16:17], v[16:17], v[18:19], v[16:17]
	v_fma_f64 v[14:15], v[14:15], v[18:19], v[14:15]
	v_fma_f64 v[18:19], -v[16:17], v[16:17], v[12:13]
	v_fma_f64 v[16:17], v[18:19], v[14:15], v[16:17]
	v_fma_f64 v[18:19], -v[16:17], v[16:17], v[12:13]
	v_fma_f64 v[14:15], v[18:19], v[14:15], v[16:17]
	v_cndmask_b32_e64 v16, 0, 0xffffff80, vcc_lo
	v_cmp_class_f64_e64 vcc_lo, v[12:13], 0x260
	v_mul_lo_u32 v17, v5, s9
	v_ldexp_f64 v[14:15], v[14:15], v16
	v_cndmask_b32_e32 v13, v15, v13, vcc_lo
	v_cndmask_b32_e32 v12, v14, v12, vcc_lo
	v_fma_f64 v[12:13], v[12:13], 0.5, -0.5
	v_floor_f64_e32 v[12:13], v[12:13]
	v_add_f64 v[12:13], v[2:3], -v[12:13]
	v_trunc_f64_e32 v[12:13], v[12:13]
	v_ldexp_f64 v[14:15], v[12:13], 0xffffffe0
	v_floor_f64_e32 v[14:15], v[14:15]
	v_fma_f64 v[12:13], 0xc1f00000, v[14:15], v[12:13]
	v_cvt_u32_f64_e32 v14, v[14:15]
	v_mad_u64_u32 v[15:16], null, v5, s8, 0
	v_cvt_u32_f64_e32 v13, v[12:13]
	v_mul_lo_u32 v12, v6, s8
	v_add3_u32 v16, v16, v17, v12
	v_mul_lo_u32 v12, v14, s14
	v_lshlrev_b64 v[15:16], 2, v[15:16]
	v_sub_co_u32 v21, vcc_lo, s11, v13
	v_sub_co_ci_u32_e64 v22, null, s16, v14, vcc_lo
	v_mul_lo_u32 v23, v13, s15
	v_mad_u64_u32 v[17:18], null, v13, s14, 0
	v_add_co_u32 v24, vcc_lo, v21, -1
	v_add_co_ci_u32_e64 v25, null, -1, v22, vcc_lo
	v_sub_co_u32 v19, vcc_lo, v7, s4
	v_add3_u32 v18, v18, v23, v12
	v_mul_lo_u32 v12, v25, v21
	v_mul_lo_u32 v23, v24, v22
	v_mad_u64_u32 v[21:22], null, v24, v21, 0
	v_subrev_co_ci_u32_e64 v20, null, s5, v8, vcc_lo
	v_lshlrev_b64 v[17:18], 2, v[17:18]
	v_add_co_u32 v15, vcc_lo, s1, v15
	v_add_co_ci_u32_e64 v16, null, s6, v16, vcc_lo
	v_lshlrev_b64 v[19:20], 2, v[19:20]
	v_add3_u32 v22, v22, v23, v12
	v_add_co_u32 v17, vcc_lo, v15, v17
	v_add_co_ci_u32_e64 v18, null, v16, v18, vcc_lo
	v_lshlrev_b64 v[15:16], 1, v[21:22]
	v_lshlrev_b64 v[12:13], 2, v[13:14]
	v_add_co_u32 v14, vcc_lo, v17, v19
	v_add_co_ci_u32_e64 v17, null, v18, v20, vcc_lo
	v_and_b32_e32 v15, -4, v15
	v_add_co_u32 v12, vcc_lo, v14, v12
	v_add_co_ci_u32_e64 v13, null, v17, v13, vcc_lo
	v_add_co_u32 v12, vcc_lo, v12, v15
	v_add_co_ci_u32_e64 v13, null, v13, v16, vcc_lo
	flat_store_dword v[12:13], v4 offset:4
.LBB16_10:                              ;   in Loop: Header=BB16_3 Depth=1
	s_mov_b32 s0, 0
.LBB16_11:                              ;   in Loop: Header=BB16_3 Depth=1
	s_andn2_b32 vcc_lo, exec_lo, s0
	s_cbranch_vccnz .LBB16_2
; %bb.12:                               ;   in Loop: Header=BB16_3 Depth=1
	s_cmpk_lg_i32 s10, 0x79
	s_cbranch_scc1 .LBB16_2
; %bb.13:                               ;   in Loop: Header=BB16_3 Depth=1
	v_lshlrev_b64 v[12:13], 3, v[7:8]
	v_cvt_f64_u32_e32 v[13:14], v13
	v_or_b32_e32 v12, 1, v12
	v_cvt_f64_u32_e32 v[15:16], v12
	v_ldexp_f64 v[12:13], v[13:14], 32
	v_add_f64 v[12:13], v[12:13], v[15:16]
	v_cmp_gt_f64_e32 vcc_lo, 0x10000000, v[12:13]
	v_cndmask_b32_e64 v14, 0, 0x100, vcc_lo
	v_ldexp_f64 v[12:13], v[12:13], v14
	v_rsq_f64_e32 v[14:15], v[12:13]
	v_mul_f64 v[16:17], v[12:13], v[14:15]
	v_mul_f64 v[14:15], v[14:15], 0.5
	v_fma_f64 v[18:19], -v[14:15], v[16:17], 0.5
	v_fma_f64 v[16:17], v[16:17], v[18:19], v[16:17]
	v_fma_f64 v[14:15], v[14:15], v[18:19], v[14:15]
	v_fma_f64 v[18:19], -v[16:17], v[16:17], v[12:13]
	v_fma_f64 v[16:17], v[18:19], v[14:15], v[16:17]
	v_fma_f64 v[18:19], -v[16:17], v[16:17], v[12:13]
	v_fma_f64 v[14:15], v[18:19], v[14:15], v[16:17]
	v_cndmask_b32_e64 v16, 0, 0xffffff80, vcc_lo
	v_cmp_class_f64_e64 vcc_lo, v[12:13], 0x260
	v_mul_lo_u32 v17, v6, s8
	v_mul_lo_u32 v18, v5, s9
	v_mad_u64_u32 v[5:6], null, v5, s8, 0
	v_add3_u32 v6, v6, v18, v17
	v_lshlrev_b64 v[5:6], 2, v[5:6]
	v_ldexp_f64 v[14:15], v[14:15], v16
	v_cndmask_b32_e32 v13, v15, v13, vcc_lo
	v_cndmask_b32_e32 v12, v14, v12, vcc_lo
	v_add_f64 v[12:13], v[12:13], -1.0
	v_mul_f64 v[12:13], v[12:13], 0.5
	v_trunc_f64_e32 v[12:13], v[12:13]
	v_ldexp_f64 v[14:15], v[12:13], 0xffffffe0
	v_floor_f64_e32 v[14:15], v[14:15]
	v_fma_f64 v[12:13], 0xc1f00000, v[14:15], v[12:13]
	v_cvt_u32_f64_e32 v14, v[14:15]
	v_cvt_u32_f64_e32 v13, v[12:13]
	v_mad_u64_u32 v[15:16], null, v13, v13, v[13:14]
	v_mul_lo_u32 v19, v13, v14
	v_mul_lo_u32 v14, s14, v14
	v_mul_lo_u32 v20, s15, v13
	v_mad_u64_u32 v[12:13], null, s14, v13, s[14:15]
	v_add3_u32 v16, v19, v16, v19
	v_add3_u32 v13, v20, v13, v14
	v_lshrrev_b64 v[14:15], 1, v[15:16]
	v_lshlrev_b64 v[12:13], 2, v[12:13]
	v_sub_co_u32 v7, vcc_lo, v7, v14
	v_sub_co_ci_u32_e64 v8, null, v8, v15, vcc_lo
	v_add_co_u32 v14, vcc_lo, s1, v5
	v_add_co_ci_u32_e64 v15, null, s6, v6, vcc_lo
	v_lshlrev_b64 v[5:6], 2, v[7:8]
	v_add_co_u32 v7, vcc_lo, v14, v12
	v_add_co_ci_u32_e64 v8, null, v15, v13, vcc_lo
	v_add_co_u32 v5, vcc_lo, v7, v5
	v_add_co_ci_u32_e64 v6, null, v8, v6, vcc_lo
	flat_store_dword v[5:6], v4
	s_branch .LBB16_2
.LBB16_14:
	s_endpgm
	.section	.rodata,"a",@progbits
	.p2align	6, 0x0
	.amdhsa_kernel _ZL18rocblas_trtri_fillILi128EfPKPfEvP15_rocblas_handle13rocblas_fill_ililT1_llii
		.amdhsa_group_segment_fixed_size 0
		.amdhsa_private_segment_fixed_size 0
		.amdhsa_kernarg_size 328
		.amdhsa_user_sgpr_count 6
		.amdhsa_user_sgpr_private_segment_buffer 1
		.amdhsa_user_sgpr_dispatch_ptr 0
		.amdhsa_user_sgpr_queue_ptr 0
		.amdhsa_user_sgpr_kernarg_segment_ptr 1
		.amdhsa_user_sgpr_dispatch_id 0
		.amdhsa_user_sgpr_flat_scratch_init 0
		.amdhsa_user_sgpr_private_segment_size 0
		.amdhsa_wavefront_size32 1
		.amdhsa_uses_dynamic_stack 0
		.amdhsa_system_sgpr_private_segment_wavefront_offset 0
		.amdhsa_system_sgpr_workgroup_id_x 1
		.amdhsa_system_sgpr_workgroup_id_y 0
		.amdhsa_system_sgpr_workgroup_id_z 1
		.amdhsa_system_sgpr_workgroup_info 0
		.amdhsa_system_vgpr_workitem_id 0
		.amdhsa_next_free_vgpr 26
		.amdhsa_next_free_sgpr 31
		.amdhsa_reserve_vcc 1
		.amdhsa_reserve_flat_scratch 0
		.amdhsa_float_round_mode_32 0
		.amdhsa_float_round_mode_16_64 0
		.amdhsa_float_denorm_mode_32 3
		.amdhsa_float_denorm_mode_16_64 3
		.amdhsa_dx10_clamp 1
		.amdhsa_ieee_mode 1
		.amdhsa_fp16_overflow 0
		.amdhsa_workgroup_processor_mode 1
		.amdhsa_memory_ordered 1
		.amdhsa_forward_progress 1
		.amdhsa_shared_vgpr_count 0
		.amdhsa_exception_fp_ieee_invalid_op 0
		.amdhsa_exception_fp_denorm_src 0
		.amdhsa_exception_fp_ieee_div_zero 0
		.amdhsa_exception_fp_ieee_overflow 0
		.amdhsa_exception_fp_ieee_underflow 0
		.amdhsa_exception_fp_ieee_inexact 0
		.amdhsa_exception_int_div_zero 0
	.end_amdhsa_kernel
	.section	.text._ZL18rocblas_trtri_fillILi128EfPKPfEvP15_rocblas_handle13rocblas_fill_ililT1_llii,"axG",@progbits,_ZL18rocblas_trtri_fillILi128EfPKPfEvP15_rocblas_handle13rocblas_fill_ililT1_llii,comdat
.Lfunc_end16:
	.size	_ZL18rocblas_trtri_fillILi128EfPKPfEvP15_rocblas_handle13rocblas_fill_ililT1_llii, .Lfunc_end16-_ZL18rocblas_trtri_fillILi128EfPKPfEvP15_rocblas_handle13rocblas_fill_ililT1_llii
                                        ; -- End function
	.set _ZL18rocblas_trtri_fillILi128EfPKPfEvP15_rocblas_handle13rocblas_fill_ililT1_llii.num_vgpr, 26
	.set _ZL18rocblas_trtri_fillILi128EfPKPfEvP15_rocblas_handle13rocblas_fill_ililT1_llii.num_agpr, 0
	.set _ZL18rocblas_trtri_fillILi128EfPKPfEvP15_rocblas_handle13rocblas_fill_ililT1_llii.numbered_sgpr, 31
	.set _ZL18rocblas_trtri_fillILi128EfPKPfEvP15_rocblas_handle13rocblas_fill_ililT1_llii.num_named_barrier, 0
	.set _ZL18rocblas_trtri_fillILi128EfPKPfEvP15_rocblas_handle13rocblas_fill_ililT1_llii.private_seg_size, 0
	.set _ZL18rocblas_trtri_fillILi128EfPKPfEvP15_rocblas_handle13rocblas_fill_ililT1_llii.uses_vcc, 1
	.set _ZL18rocblas_trtri_fillILi128EfPKPfEvP15_rocblas_handle13rocblas_fill_ililT1_llii.uses_flat_scratch, 0
	.set _ZL18rocblas_trtri_fillILi128EfPKPfEvP15_rocblas_handle13rocblas_fill_ililT1_llii.has_dyn_sized_stack, 0
	.set _ZL18rocblas_trtri_fillILi128EfPKPfEvP15_rocblas_handle13rocblas_fill_ililT1_llii.has_recursion, 0
	.set _ZL18rocblas_trtri_fillILi128EfPKPfEvP15_rocblas_handle13rocblas_fill_ililT1_llii.has_indirect_call, 0
	.section	.AMDGPU.csdata,"",@progbits
; Kernel info:
; codeLenInByte = 2020
; TotalNumSgprs: 33
; NumVgprs: 26
; ScratchSize: 0
; MemoryBound: 0
; FloatMode: 240
; IeeeMode: 1
; LDSByteSize: 0 bytes/workgroup (compile time only)
; SGPRBlocks: 0
; VGPRBlocks: 3
; NumSGPRsForWavesPerEU: 33
; NumVGPRsForWavesPerEU: 26
; Occupancy: 16
; WaveLimiterHint : 1
; COMPUTE_PGM_RSRC2:SCRATCH_EN: 0
; COMPUTE_PGM_RSRC2:USER_SGPR: 6
; COMPUTE_PGM_RSRC2:TRAP_HANDLER: 0
; COMPUTE_PGM_RSRC2:TGID_X_EN: 1
; COMPUTE_PGM_RSRC2:TGID_Y_EN: 0
; COMPUTE_PGM_RSRC2:TGID_Z_EN: 1
; COMPUTE_PGM_RSRC2:TIDIG_COMP_CNT: 0
	.section	.text._ZL26rocblas_trtri_small_kernelILi16EfPKPKfPKPfEv13rocblas_fill_17rocblas_diagonal_iT1_lillT2_lilli,"axG",@progbits,_ZL26rocblas_trtri_small_kernelILi16EfPKPKfPKPfEv13rocblas_fill_17rocblas_diagonal_iT1_lillT2_lilli,comdat
	.globl	_ZL26rocblas_trtri_small_kernelILi16EfPKPKfPKPfEv13rocblas_fill_17rocblas_diagonal_iT1_lillT2_lilli ; -- Begin function _ZL26rocblas_trtri_small_kernelILi16EfPKPKfPKPfEv13rocblas_fill_17rocblas_diagonal_iT1_lillT2_lilli
	.p2align	8
	.type	_ZL26rocblas_trtri_small_kernelILi16EfPKPKfPKPfEv13rocblas_fill_17rocblas_diagonal_iT1_lillT2_lilli,@function
_ZL26rocblas_trtri_small_kernelILi16EfPKPKfPKPfEv13rocblas_fill_17rocblas_diagonal_iT1_lillT2_lilli: ; @_ZL26rocblas_trtri_small_kernelILi16EfPKPKfPKPfEv13rocblas_fill_17rocblas_diagonal_iT1_lillT2_lilli
; %bb.0:
	s_load_dwordx4 s[8:11], s[4:5], 0x0
	s_waitcnt lgkmcnt(0)
	s_cmp_lt_i32 s10, 1
	s_cbranch_scc1 .LBB17_36
; %bb.1:
	s_clause 0x1
	s_load_dwordx4 s[16:19], s[4:5], 0x30
	s_load_dwordx2 s[20:21], s[4:5], 0x40
	s_mov_b32 s0, s7
	s_mov_b32 s1, 0
	s_lshl_b64 s[2:3], s[0:1], 3
	s_waitcnt lgkmcnt(0)
	s_add_u32 s0, s18, s2
	s_addc_u32 s1, s19, s3
	s_load_dwordx2 s[18:19], s[0:1], 0x0
	v_cmp_le_u32_e64 s1, s10, v0
	v_cmp_gt_u32_e64 s0, s10, v0
	s_and_saveexec_b32 s7, s0
	s_cbranch_execz .LBB17_9
; %bb.2:
	s_clause 0x1
	s_load_dwordx4 s[12:15], s[4:5], 0x10
	s_load_dword s22, s[4:5], 0x20
	s_waitcnt lgkmcnt(0)
	s_add_u32 s2, s12, s2
	s_addc_u32 s3, s13, s3
	s_load_dwordx2 s[12:13], s[2:3], 0x0
	s_mul_i32 s2, s17, s6
	s_mul_hi_u32 s3, s16, s6
	s_mul_i32 s16, s16, s6
	s_add_i32 s17, s3, s2
	s_cmpk_lg_i32 s8, 0x7a
	s_mov_b32 s2, -1
	s_cbranch_scc0 .LBB17_6
; %bb.3:
	s_add_i32 s2, s10, -1
	s_ashr_i32 s23, s22, 31
	s_mul_hi_u32 s11, s22, s2
	s_mul_i32 s3, s23, s2
	v_sub_nc_u32_e32 v1, s2, v0
	s_add_i32 s3, s11, s3
	s_mul_i32 s2, s22, s2
	s_lshl_b64 s[24:25], s[16:17], 2
	s_lshl_b64 s[26:27], s[2:3], 2
	s_lshl_b32 s3, s10, 2
	s_add_u32 s2, s24, s26
	s_addc_u32 s11, s25, s27
	s_lshl_b64 s[24:25], s[14:15], 2
	v_lshlrev_b32_e32 v3, 2, v1
	v_lshlrev_b32_e32 v1, 2, v0
	s_add_u32 s2, s2, s24
	s_addc_u32 s11, s11, s25
	s_waitcnt lgkmcnt(0)
	s_add_u32 s2, s12, s2
	s_addc_u32 s11, s13, s11
	v_add_co_u32 v1, s2, s2, v1
	s_lshl_b64 s[24:25], s[22:23], 2
	v_add_co_ci_u32_e64 v2, null, s11, 0, s2
	s_sub_u32 s11, 0, s24
	s_subb_u32 s24, 0, s25
	s_mov_b32 s23, 0
	s_mov_b32 s25, s10
.LBB17_4:                               ; =>This Inner Loop Header: Depth=1
	flat_load_dword v4, v[1:2]
	s_add_i32 s25, s25, -1
	v_add_co_u32 v1, vcc_lo, v1, s11
	v_cmp_le_u32_e64 s2, s25, v0
	v_add_co_ci_u32_e64 v2, null, s24, v2, vcc_lo
	s_or_b32 s23, s2, s23
	s_waitcnt vmcnt(0) lgkmcnt(0)
	ds_write_b32 v3, v4
	v_add_nc_u32_e32 v3, s3, v3
	s_andn2_b32 exec_lo, exec_lo, s23
	s_cbranch_execnz .LBB17_4
; %bb.5:
	s_or_b32 exec_lo, exec_lo, s23
	s_mov_b32 s2, 0
.LBB17_6:
	s_and_b32 vcc_lo, exec_lo, s2
	s_cbranch_vccz .LBB17_9
; %bb.7:
	s_lshl_b64 s[2:3], s[14:15], 2
	v_lshlrev_b32_e32 v3, 2, v0
	s_waitcnt lgkmcnt(0)
	s_add_u32 s11, s12, s2
	s_addc_u32 s12, s13, s3
	s_lshl_b64 s[2:3], s[16:17], 2
	v_add_nc_u32_e32 v4, 1, v0
	s_add_u32 s2, s11, s2
	s_addc_u32 s3, s12, s3
	v_add_co_u32 v1, s2, s2, v3
	v_add_co_ci_u32_e64 v2, null, s3, 0, s2
	s_ashr_i32 s23, s22, 31
	s_lshl_b32 s3, s10, 2
	s_lshl_b64 s[12:13], s[22:23], 2
	s_mov_b32 s11, 0
.LBB17_8:                               ; =>This Inner Loop Header: Depth=1
	flat_load_dword v5, v[1:2]
	v_add_nc_u32_e32 v4, -1, v4
	v_add_co_u32 v1, vcc_lo, v1, s12
	v_add_co_ci_u32_e64 v2, null, s13, v2, vcc_lo
	v_cmp_eq_u32_e64 s2, 0, v4
	s_or_b32 s11, s2, s11
	s_waitcnt vmcnt(0) lgkmcnt(0)
	ds_write_b32 v3, v5
	v_add_nc_u32_e32 v3, s3, v3
	s_andn2_b32 exec_lo, exec_lo, s11
	s_cbranch_execnz .LBB17_8
.LBB17_9:
	s_or_b32 exec_lo, exec_lo, s7
	s_waitcnt lgkmcnt(0)
	; wave barrier
	buffer_gl0_inv
                                        ; implicit-def: $vgpr1
	s_and_saveexec_b32 s2, s1
	s_xor_b32 s1, exec_lo, s2
; %bb.10:
	v_mad_u64_u32 v[1:2], null, v0, s10, v[0:1]
; %bb.11:
	s_andn2_saveexec_b32 s1, s1
	s_cbranch_execz .LBB17_17
; %bb.12:
	v_mad_u64_u32 v[1:2], null, v0, s10, v[0:1]
	v_mov_b32_e32 v4, 1.0
	s_cmpk_eq_i32 s9, 0x84
	v_lshlrev_b32_e32 v2, 2, v1
	s_cbranch_scc1 .LBB17_16
; %bb.13:
	ds_read_b32 v3, v2
	v_mov_b32_e32 v4, 1.0
	s_mov_b32 s2, exec_lo
	s_waitcnt lgkmcnt(0)
	v_cmpx_neq_f32_e32 0, v3
	s_cbranch_execz .LBB17_15
; %bb.14:
	v_div_scale_f32 v4, null, v3, v3, 1.0
	v_rcp_f32_e32 v5, v4
	v_fma_f32 v6, -v4, v5, 1.0
	v_fmac_f32_e32 v5, v6, v5
	v_div_scale_f32 v6, vcc_lo, 1.0, v3, 1.0
	v_mul_f32_e32 v7, v6, v5
	v_fma_f32 v8, -v4, v7, v6
	v_fmac_f32_e32 v7, v8, v5
	v_fma_f32 v4, -v4, v7, v6
	v_div_fmas_f32 v4, v4, v5, v7
	v_div_fixup_f32 v4, v4, v3, 1.0
.LBB17_15:
	s_or_b32 exec_lo, exec_lo, s2
.LBB17_16:
	ds_write_b32 v2, v4
.LBB17_17:
	s_or_b32 exec_lo, exec_lo, s1
	v_lshlrev_b32_e32 v3, 2, v0
	s_lshl_b32 s1, s10, 2
	v_lshlrev_b32_e32 v1, 2, v1
	s_mov_b32 s2, 4
	s_add_i32 s3, s1, 4
	v_add_nc_u32_e32 v2, s1, v3
	s_mov_b32 s7, 0
	s_waitcnt lgkmcnt(0)
	; wave barrier
	buffer_gl0_inv
	s_branch .LBB17_19
.LBB17_18:                              ;   in Loop: Header=BB17_19 Depth=1
	s_inst_prefetch 0x2
	v_add_nc_u32_e32 v2, s1, v2
	s_add_i32 s2, s2, s3
	s_cmp_eq_u32 s7, s10
	; wave barrier
	buffer_gl0_inv
	s_cbranch_scc1 .LBB17_28
.LBB17_19:                              ; =>This Loop Header: Depth=1
                                        ;     Child Loop BB17_24 Depth 2
	v_mov_b32_e32 v4, 0
	s_mul_i32 s9, s7, s10
	s_mov_b32 s11, exec_lo
	v_cmpx_lt_u32_e64 s7, v0
	s_cbranch_execz .LBB17_21
; %bb.20:                               ;   in Loop: Header=BB17_19 Depth=1
	s_lshl_b32 s12, s7, 2
	s_lshl_b32 s13, s9, 2
	s_add_i32 s12, s12, s13
	v_add_nc_u32_e32 v4, s13, v3
	v_mov_b32_e32 v5, s12
	ds_read_b32 v4, v4
	ds_read_b32 v5, v5
	s_waitcnt lgkmcnt(0)
	v_fma_f32 v4, v4, v5, 0
.LBB17_21:                              ;   in Loop: Header=BB17_19 Depth=1
	s_or_b32 exec_lo, exec_lo, s11
	s_add_i32 s7, s7, 1
	s_cmp_ge_i32 s7, s10
	; wave barrier
	buffer_gl0_inv
	s_cbranch_scc1 .LBB17_18
; %bb.22:                               ;   in Loop: Header=BB17_19 Depth=1
	v_lshl_add_u32 v5, s9, 2, v3
	v_mov_b32_e32 v6, v2
	s_mov_b32 s9, s2
	s_mov_b32 s11, s7
	s_inst_prefetch 0x1
	s_branch .LBB17_24
	.p2align	6
.LBB17_23:                              ;   in Loop: Header=BB17_24 Depth=2
	s_or_b32 exec_lo, exec_lo, s12
	v_add_nc_u32_e32 v6, s1, v6
	s_add_i32 s11, s11, 1
	s_add_i32 s9, s9, 4
	s_cmp_eq_u32 s10, s11
	; wave barrier
	buffer_gl0_inv
	s_cbranch_scc1 .LBB17_18
.LBB17_24:                              ;   Parent Loop BB17_19 Depth=1
                                        ; =>  This Inner Loop Header: Depth=2
	s_mov_b32 s12, exec_lo
	v_cmpx_eq_u32_e64 s11, v0
	s_cbranch_execz .LBB17_26
; %bb.25:                               ;   in Loop: Header=BB17_24 Depth=2
	ds_read_b32 v7, v1
	s_waitcnt lgkmcnt(0)
	v_mul_f32_e64 v7, -v4, v7
	ds_write_b32 v5, v7
.LBB17_26:                              ;   in Loop: Header=BB17_24 Depth=2
	s_or_b32 exec_lo, exec_lo, s12
	s_mov_b32 s12, exec_lo
	s_waitcnt lgkmcnt(0)
	; wave barrier
	buffer_gl0_inv
	v_cmpx_lt_u32_e64 s11, v0
	s_cbranch_execz .LBB17_23
; %bb.27:                               ;   in Loop: Header=BB17_24 Depth=2
	v_mov_b32_e32 v7, s9
	ds_read_b32 v8, v6
	ds_read_b32 v7, v7
	s_waitcnt lgkmcnt(0)
	v_fmac_f32_e32 v4, v8, v7
	s_branch .LBB17_23
.LBB17_28:
	s_and_saveexec_b32 s2, s0
	s_cbranch_execz .LBB17_36
; %bb.29:
	s_clause 0x1
	s_load_dwordx2 s[12:13], s[4:5], 0x58
	s_load_dword s2, s[4:5], 0x48
	s_waitcnt lgkmcnt(0)
	s_mul_i32 s0, s13, s6
	s_mul_hi_u32 s3, s12, s6
	s_mul_i32 s4, s12, s6
	s_add_i32 s5, s3, s0
	s_cmpk_lg_i32 s8, 0x7a
	s_mov_b32 s0, -1
	s_cbranch_scc0 .LBB17_33
; %bb.30:
	s_add_i32 s0, s10, -1
	s_ashr_i32 s3, s2, 31
	s_mul_hi_u32 s7, s2, s0
	s_mul_i32 s6, s3, s0
	v_sub_nc_u32_e32 v1, s0, v0
	s_add_i32 s7, s7, s6
	s_mul_i32 s6, s2, s0
	s_lshl_b64 s[8:9], s[4:5], 2
	s_lshl_b64 s[6:7], s[6:7], 2
	v_lshlrev_b32_e32 v4, 2, v1
	s_add_u32 s0, s8, s6
	s_addc_u32 s8, s9, s7
	s_lshl_b64 s[6:7], s[20:21], 2
	v_lshlrev_b32_e32 v1, 2, v0
	s_add_u32 s0, s0, s6
	s_addc_u32 s6, s8, s7
	s_add_u32 s0, s18, s0
	s_addc_u32 s8, s19, s6
	v_add_co_u32 v1, s0, s0, v1
	s_lshl_b64 s[6:7], s[2:3], 2
	v_add_co_ci_u32_e64 v2, null, s8, 0, s0
	s_sub_u32 s3, 0, s6
	s_subb_u32 s7, 0, s7
	s_mov_b32 s6, 0
.LBB17_31:                              ; =>This Inner Loop Header: Depth=1
	ds_read_b32 v5, v4
	s_add_i32 s10, s10, -1
	v_add_nc_u32_e32 v4, s1, v4
	v_cmp_le_u32_e32 vcc_lo, s10, v0
	s_or_b32 s6, vcc_lo, s6
	s_waitcnt lgkmcnt(0)
	flat_store_dword v[1:2], v5
	v_add_co_u32 v1, s0, v1, s3
	v_add_co_ci_u32_e64 v2, null, s7, v2, s0
	s_andn2_b32 exec_lo, exec_lo, s6
	s_cbranch_execnz .LBB17_31
; %bb.32:
	s_or_b32 exec_lo, exec_lo, s6
	s_mov_b32 s0, 0
.LBB17_33:
	s_and_b32 vcc_lo, exec_lo, s0
	s_cbranch_vccz .LBB17_36
; %bb.34:
	s_lshl_b64 s[6:7], s[20:21], 2
	v_lshlrev_b32_e32 v1, 2, v0
	s_add_u32 s0, s18, s6
	s_addc_u32 s3, s19, s7
	s_lshl_b64 s[4:5], s[4:5], 2
	v_add_nc_u32_e32 v0, 1, v0
	s_add_u32 s0, s0, s4
	s_addc_u32 s4, s3, s5
	v_add_co_u32 v1, s0, s0, v1
	v_add_co_ci_u32_e64 v2, null, s4, 0, s0
	s_ashr_i32 s3, s2, 31
	s_mov_b32 s4, 0
	s_lshl_b64 s[2:3], s[2:3], 2
.LBB17_35:                              ; =>This Inner Loop Header: Depth=1
	ds_read_b32 v4, v3
	v_add_nc_u32_e32 v0, -1, v0
	v_add_nc_u32_e32 v3, s1, v3
	v_cmp_eq_u32_e32 vcc_lo, 0, v0
	s_or_b32 s4, vcc_lo, s4
	s_waitcnt lgkmcnt(0)
	flat_store_dword v[1:2], v4
	v_add_co_u32 v1, s0, v1, s2
	v_add_co_ci_u32_e64 v2, null, s3, v2, s0
	s_andn2_b32 exec_lo, exec_lo, s4
	s_cbranch_execnz .LBB17_35
.LBB17_36:
	s_endpgm
	.section	.rodata,"a",@progbits
	.p2align	6, 0x0
	.amdhsa_kernel _ZL26rocblas_trtri_small_kernelILi16EfPKPKfPKPfEv13rocblas_fill_17rocblas_diagonal_iT1_lillT2_lilli
		.amdhsa_group_segment_fixed_size 1024
		.amdhsa_private_segment_fixed_size 0
		.amdhsa_kernarg_size 100
		.amdhsa_user_sgpr_count 6
		.amdhsa_user_sgpr_private_segment_buffer 1
		.amdhsa_user_sgpr_dispatch_ptr 0
		.amdhsa_user_sgpr_queue_ptr 0
		.amdhsa_user_sgpr_kernarg_segment_ptr 1
		.amdhsa_user_sgpr_dispatch_id 0
		.amdhsa_user_sgpr_flat_scratch_init 0
		.amdhsa_user_sgpr_private_segment_size 0
		.amdhsa_wavefront_size32 1
		.amdhsa_uses_dynamic_stack 0
		.amdhsa_system_sgpr_private_segment_wavefront_offset 0
		.amdhsa_system_sgpr_workgroup_id_x 1
		.amdhsa_system_sgpr_workgroup_id_y 0
		.amdhsa_system_sgpr_workgroup_id_z 1
		.amdhsa_system_sgpr_workgroup_info 0
		.amdhsa_system_vgpr_workitem_id 0
		.amdhsa_next_free_vgpr 9
		.amdhsa_next_free_sgpr 28
		.amdhsa_reserve_vcc 1
		.amdhsa_reserve_flat_scratch 0
		.amdhsa_float_round_mode_32 0
		.amdhsa_float_round_mode_16_64 0
		.amdhsa_float_denorm_mode_32 3
		.amdhsa_float_denorm_mode_16_64 3
		.amdhsa_dx10_clamp 1
		.amdhsa_ieee_mode 1
		.amdhsa_fp16_overflow 0
		.amdhsa_workgroup_processor_mode 1
		.amdhsa_memory_ordered 1
		.amdhsa_forward_progress 1
		.amdhsa_shared_vgpr_count 0
		.amdhsa_exception_fp_ieee_invalid_op 0
		.amdhsa_exception_fp_denorm_src 0
		.amdhsa_exception_fp_ieee_div_zero 0
		.amdhsa_exception_fp_ieee_overflow 0
		.amdhsa_exception_fp_ieee_underflow 0
		.amdhsa_exception_fp_ieee_inexact 0
		.amdhsa_exception_int_div_zero 0
	.end_amdhsa_kernel
	.section	.text._ZL26rocblas_trtri_small_kernelILi16EfPKPKfPKPfEv13rocblas_fill_17rocblas_diagonal_iT1_lillT2_lilli,"axG",@progbits,_ZL26rocblas_trtri_small_kernelILi16EfPKPKfPKPfEv13rocblas_fill_17rocblas_diagonal_iT1_lillT2_lilli,comdat
.Lfunc_end17:
	.size	_ZL26rocblas_trtri_small_kernelILi16EfPKPKfPKPfEv13rocblas_fill_17rocblas_diagonal_iT1_lillT2_lilli, .Lfunc_end17-_ZL26rocblas_trtri_small_kernelILi16EfPKPKfPKPfEv13rocblas_fill_17rocblas_diagonal_iT1_lillT2_lilli
                                        ; -- End function
	.set _ZL26rocblas_trtri_small_kernelILi16EfPKPKfPKPfEv13rocblas_fill_17rocblas_diagonal_iT1_lillT2_lilli.num_vgpr, 9
	.set _ZL26rocblas_trtri_small_kernelILi16EfPKPKfPKPfEv13rocblas_fill_17rocblas_diagonal_iT1_lillT2_lilli.num_agpr, 0
	.set _ZL26rocblas_trtri_small_kernelILi16EfPKPKfPKPfEv13rocblas_fill_17rocblas_diagonal_iT1_lillT2_lilli.numbered_sgpr, 28
	.set _ZL26rocblas_trtri_small_kernelILi16EfPKPKfPKPfEv13rocblas_fill_17rocblas_diagonal_iT1_lillT2_lilli.num_named_barrier, 0
	.set _ZL26rocblas_trtri_small_kernelILi16EfPKPKfPKPfEv13rocblas_fill_17rocblas_diagonal_iT1_lillT2_lilli.private_seg_size, 0
	.set _ZL26rocblas_trtri_small_kernelILi16EfPKPKfPKPfEv13rocblas_fill_17rocblas_diagonal_iT1_lillT2_lilli.uses_vcc, 1
	.set _ZL26rocblas_trtri_small_kernelILi16EfPKPKfPKPfEv13rocblas_fill_17rocblas_diagonal_iT1_lillT2_lilli.uses_flat_scratch, 0
	.set _ZL26rocblas_trtri_small_kernelILi16EfPKPKfPKPfEv13rocblas_fill_17rocblas_diagonal_iT1_lillT2_lilli.has_dyn_sized_stack, 0
	.set _ZL26rocblas_trtri_small_kernelILi16EfPKPKfPKPfEv13rocblas_fill_17rocblas_diagonal_iT1_lillT2_lilli.has_recursion, 0
	.set _ZL26rocblas_trtri_small_kernelILi16EfPKPKfPKPfEv13rocblas_fill_17rocblas_diagonal_iT1_lillT2_lilli.has_indirect_call, 0
	.section	.AMDGPU.csdata,"",@progbits
; Kernel info:
; codeLenInByte = 1400
; TotalNumSgprs: 30
; NumVgprs: 9
; ScratchSize: 0
; MemoryBound: 0
; FloatMode: 240
; IeeeMode: 1
; LDSByteSize: 1024 bytes/workgroup (compile time only)
; SGPRBlocks: 0
; VGPRBlocks: 1
; NumSGPRsForWavesPerEU: 30
; NumVGPRsForWavesPerEU: 9
; Occupancy: 16
; WaveLimiterHint : 0
; COMPUTE_PGM_RSRC2:SCRATCH_EN: 0
; COMPUTE_PGM_RSRC2:USER_SGPR: 6
; COMPUTE_PGM_RSRC2:TRAP_HANDLER: 0
; COMPUTE_PGM_RSRC2:TGID_X_EN: 1
; COMPUTE_PGM_RSRC2:TGID_Y_EN: 0
; COMPUTE_PGM_RSRC2:TGID_Z_EN: 1
; COMPUTE_PGM_RSRC2:TIDIG_COMP_CNT: 0
	.section	.text._ZL29rocblas_trtri_diagonal_kernelILi16EfPKPKfPKPfEv13rocblas_fill_17rocblas_diagonal_iT1_lillT2_lilli,"axG",@progbits,_ZL29rocblas_trtri_diagonal_kernelILi16EfPKPKfPKPfEv13rocblas_fill_17rocblas_diagonal_iT1_lillT2_lilli,comdat
	.globl	_ZL29rocblas_trtri_diagonal_kernelILi16EfPKPKfPKPfEv13rocblas_fill_17rocblas_diagonal_iT1_lillT2_lilli ; -- Begin function _ZL29rocblas_trtri_diagonal_kernelILi16EfPKPKfPKPfEv13rocblas_fill_17rocblas_diagonal_iT1_lillT2_lilli
	.p2align	8
	.type	_ZL29rocblas_trtri_diagonal_kernelILi16EfPKPKfPKPfEv13rocblas_fill_17rocblas_diagonal_iT1_lillT2_lilli,@function
_ZL29rocblas_trtri_diagonal_kernelILi16EfPKPKfPKPfEv13rocblas_fill_17rocblas_diagonal_iT1_lillT2_lilli: ; @_ZL29rocblas_trtri_diagonal_kernelILi16EfPKPKfPKPfEv13rocblas_fill_17rocblas_diagonal_iT1_lillT2_lilli
; %bb.0:
	s_load_dwordx4 s[8:11], s[4:5], 0x0
	s_mov_b32 s0, s7
	s_waitcnt lgkmcnt(0)
	s_ashr_i32 s1, s10, 31
	s_lshr_b32 s1, s1, 27
	s_add_i32 s1, s10, s1
	s_ashr_i32 s1, s1, 5
	v_cvt_f32_u32_e32 v1, s1
	s_sub_i32 s3, 0, s1
	v_rcp_iflag_f32_e32 v1, v1
	v_mul_f32_e32 v1, 0x4f7ffffe, v1
	v_cvt_u32_f32_e32 v1, v1
	v_readfirstlane_b32 s2, v1
	s_mul_i32 s3, s3, s2
	s_mul_hi_u32 s3, s2, s3
	s_add_i32 s2, s2, s3
	s_mul_hi_u32 s2, s6, s2
	s_mul_i32 s3, s2, s1
	s_add_i32 s7, s2, 1
	s_sub_i32 s3, s6, s3
	s_sub_i32 s11, s3, s1
	s_cmp_ge_u32 s3, s1
	s_cselect_b32 s2, s7, s2
	s_cselect_b32 s3, s11, s3
	s_add_i32 s7, s2, 1
	s_cmp_ge_u32 s3, s1
	s_cselect_b32 s24, s7, s2
	s_mul_i32 s1, s24, s1
	s_sub_i32 s25, s6, s1
	s_mov_b32 s1, 0
	s_lshl_b32 s2, s25, 4
	s_cmp_eq_u32 s10, s2
	s_cbranch_scc1 .LBB18_89
; %bb.1:
	s_clause 0x1
	s_load_dwordx4 s[12:15], s[4:5], 0x10
	s_load_dwordx4 s[16:19], s[4:5], 0x30
	s_lshl_b64 s[0:1], s[0:1], 3
	s_load_dwordx2 s[20:21], s[4:5], 0x40
	v_mov_b32_e32 v1, v0
	s_waitcnt lgkmcnt(0)
	s_add_u32 s6, s12, s0
	s_addc_u32 s7, s13, s1
	s_add_u32 s0, s18, s0
	s_addc_u32 s1, s19, s1
	s_load_dwordx2 s[12:13], s[6:7], 0x0
	s_load_dwordx2 s[6:7], s[0:1], 0x0
	s_sub_i32 s23, s10, s2
	s_min_u32 s22, s23, 16
	s_lshl_b32 s10, s22, 1
	v_cmp_gt_u32_e64 s2, s22, v0
	v_cmp_le_u32_e64 s0, s22, v0
	v_cmp_gt_u32_e64 s1, s10, v0
	v_cmp_le_u32_e32 vcc_lo, s10, v0
	s_and_saveexec_b32 s3, s0
	s_cbranch_execz .LBB18_7
; %bb.2:
                                        ; implicit-def: $vgpr1
	s_and_saveexec_b32 s11, vcc_lo
	s_xor_b32 s11, exec_lo, s11
; %bb.3:
	v_subrev_nc_u32_e32 v1, s10, v0
; %bb.4:
	s_andn2_saveexec_b32 s10, s11
; %bb.5:
	v_subrev_nc_u32_e32 v1, s22, v0
; %bb.6:
	s_or_b32 exec_lo, exec_lo, s10
.LBB18_7:
	s_or_b32 exec_lo, exec_lo, s3
	s_load_dword s10, s[4:5], 0x20
	v_cndmask_b32_e64 v2, 0, 0xc00, s1
	s_mul_i32 s3, s17, s24
	s_mul_hi_u32 s17, s16, s24
	v_cndmask_b32_e64 v7, v2, 0x800, s2
	s_waitcnt lgkmcnt(0)
	s_ashr_i32 s11, s10, 31
	s_lshl_b64 s[18:19], s[10:11], 5
	s_add_u32 s2, s18, 32
	s_addc_u32 s18, s19, 0
	s_add_i32 s3, s17, s3
	s_mul_hi_u32 s17, s2, s25
	s_mul_i32 s19, s18, s25
	s_mul_i32 s18, s2, s25
	s_add_i32 s19, s17, s19
	s_mul_i32 s2, s16, s24
	s_and_saveexec_b32 s16, vcc_lo
	s_xor_b32 s26, exec_lo, s16
	s_cbranch_execz .LBB18_17
; %bb.8:
	s_mul_i32 s16, s22, 3
	s_mov_b32 s27, exec_lo
	v_cmpx_gt_u32_e64 s16, v0
	s_cbranch_execz .LBB18_16
; %bb.9:
	s_cmpk_eq_i32 s8, 0x7a
	s_mov_b32 s16, -1
	s_cbranch_scc1 .LBB18_13
; %bb.10:
	s_add_i32 s28, s22, -1
	s_lshl_b32 s36, s22, 2
	s_mul_i32 s17, s22, s28
	s_lshl_b64 s[30:31], s[2:3], 2
	s_lshl_b64 s[34:35], s[18:19], 2
	s_add_i32 s16, s22, 1
	s_lshl_b32 s33, s17, 2
	s_mov_b32 s29, 0
	s_sub_i32 s17, 0, s36
	v_lshlrev_b32_e32 v3, 2, v1
	s_add_u32 s30, s30, s34
	s_addc_u32 s31, s31, s35
	s_lshl_b64 s[28:29], s[28:29], 2
	v_ashrrev_i32_e32 v2, 31, v1
	s_add_u32 s28, s36, s28
	v_add3_u32 v4, s33, v3, v7
	s_mul_i32 s33, s28, s11
	s_mul_hi_u32 s34, s28, s10
	s_addc_u32 s29, 0, s29
	s_add_i32 s33, s34, s33
	s_mul_i32 s29, s29, s10
	s_mul_i32 s28, s28, s10
	s_add_i32 s33, s33, s29
	s_add_u32 s30, s30, s28
	s_addc_u32 s31, s31, s33
	s_lshl_b64 s[28:29], s[14:15], 2
	v_lshlrev_b64 v[2:3], 2, v[1:2]
	s_add_u32 s28, s30, s28
	s_addc_u32 s29, s31, s29
	s_add_u32 s28, s12, s28
	s_addc_u32 s29, s13, s29
	v_add_co_u32 v2, vcc_lo, s28, v2
	v_add_co_ci_u32_e64 v3, null, s29, v3, vcc_lo
	s_lshl_b64 s[28:29], s[10:11], 2
	s_sub_u32 s28, 0, s28
	s_subb_u32 s29, 0, s29
.LBB18_11:                              ; =>This Inner Loop Header: Depth=1
	flat_load_dword v5, v[2:3]
	v_add_co_u32 v2, vcc_lo, v2, s28
	v_add_co_ci_u32_e64 v3, null, s29, v3, vcc_lo
	s_add_i32 s16, s16, -1
	s_cmp_gt_u32 s16, 1
	s_waitcnt vmcnt(0) lgkmcnt(0)
	ds_write_b32 v4, v5
	v_add_nc_u32_e32 v4, s17, v4
	s_cbranch_scc1 .LBB18_11
; %bb.12:
	s_mov_b32 s16, 0
.LBB18_13:
	s_and_b32 vcc_lo, exec_lo, s16
	s_cbranch_vccz .LBB18_16
; %bb.14:
	v_add_nc_u32_e32 v2, s22, v1
	s_lshl_b64 s[16:17], s[14:15], 2
	v_lshl_add_u32 v4, v1, 2, v7
	s_add_u32 s28, s12, s16
	s_addc_u32 s29, s13, s17
	v_ashrrev_i32_e32 v3, 31, v2
	s_lshl_b64 s[16:17], s[18:19], 2
	s_add_u32 s28, s28, s16
	s_addc_u32 s29, s29, s17
	v_lshlrev_b64 v[2:3], 2, v[2:3]
	s_lshl_b64 s[16:17], s[2:3], 2
	s_add_u32 s16, s28, s16
	s_addc_u32 s17, s29, s17
	s_lshl_b32 s28, s22, 2
	v_add_co_u32 v2, vcc_lo, s16, v2
	v_add_co_ci_u32_e64 v3, null, s17, v3, vcc_lo
	s_lshl_b64 s[16:17], s[10:11], 2
	s_mov_b32 s29, s22
.LBB18_15:                              ; =>This Inner Loop Header: Depth=1
	flat_load_dword v5, v[2:3]
	v_add_co_u32 v2, vcc_lo, v2, s16
	v_add_co_ci_u32_e64 v3, null, s17, v3, vcc_lo
	s_add_i32 s29, s29, -1
	s_cmp_eq_u32 s29, 0
	s_waitcnt vmcnt(0) lgkmcnt(0)
	ds_write_b32 v4, v5
	v_add_nc_u32_e32 v4, s28, v4
	s_cbranch_scc0 .LBB18_15
.LBB18_16:
	s_or_b32 exec_lo, exec_lo, s27
.LBB18_17:
	s_andn2_saveexec_b32 s16, s26
	s_cbranch_execz .LBB18_31
; %bb.18:
	v_mov_b32_e32 v2, 0
	v_mov_b32_e32 v3, 0
	s_and_saveexec_b32 s17, s0
; %bb.19:
	s_add_u32 s26, s10, 1
	s_addc_u32 s27, s11, 0
	s_mul_hi_u32 s28, s26, s22
	s_mul_i32 s27, s27, s22
	s_mul_i32 s26, s26, s22
	s_add_i32 s27, s28, s27
	v_mov_b32_e32 v2, s26
	v_mov_b32_e32 v3, s27
; %bb.20:
	s_or_b32 exec_lo, exec_lo, s17
	v_lshlrev_b64 v[3:4], 2, v[2:3]
	s_cmpk_lg_i32 s8, 0x7a
	s_mov_b32 s17, -1
	s_cbranch_scc0 .LBB18_26
; %bb.21:
	s_lshl_b64 s[26:27], s[2:3], 2
	s_lshl_b64 s[28:29], s[18:19], 2
	s_add_i32 s17, s22, -1
	s_add_u32 s28, s26, s28
	s_mul_i32 s26, s11, s17
	s_mul_hi_u32 s30, s10, s17
	s_addc_u32 s29, s27, s29
	s_add_i32 s27, s30, s26
	s_mul_i32 s26, s10, s17
	v_ashrrev_i32_e32 v2, 31, v1
	s_lshl_b64 s[26:27], s[26:27], 2
	v_sub_nc_u32_e32 v8, s17, v1
	s_add_u32 s28, s28, s26
	s_addc_u32 s29, s29, s27
	s_lshl_b64 s[26:27], s[14:15], 2
	v_lshlrev_b64 v[5:6], 2, v[1:2]
	s_add_u32 s17, s26, s28
	s_addc_u32 s26, s27, s29
	v_add_co_u32 v9, vcc_lo, s17, v3
	v_add_co_ci_u32_e64 v10, null, s26, v4, vcc_lo
	v_lshl_add_u32 v2, v8, 2, v7
	v_add_co_u32 v5, vcc_lo, v9, v5
	v_add_co_ci_u32_e64 v6, null, v10, v6, vcc_lo
	s_lshl_b64 s[26:27], s[10:11], 2
	v_add_co_u32 v5, vcc_lo, s12, v5
	v_add_co_ci_u32_e64 v6, null, s13, v6, vcc_lo
	s_sub_u32 s17, 0, s26
	s_subb_u32 s26, 0, s27
	s_lshl_b32 s27, s22, 2
	s_mov_b32 s28, s22
	s_branch .LBB18_23
	.p2align	6
.LBB18_22:                              ;   in Loop: Header=BB18_23 Depth=1
	s_or_b32 exec_lo, exec_lo, s29
	v_add_co_u32 v5, vcc_lo, v5, s17
	s_waitcnt vmcnt(0) lgkmcnt(0)
	ds_write_b32 v2, v8
	v_add_co_ci_u32_e64 v6, null, s26, v6, vcc_lo
	v_add_nc_u32_e32 v2, s27, v2
	s_cmp_lt_i32 s28, 1
	s_cbranch_scc1 .LBB18_25
.LBB18_23:                              ; =>This Inner Loop Header: Depth=1
	v_mov_b32_e32 v8, 0
	s_add_i32 s28, s28, -1
	s_mov_b32 s29, exec_lo
	v_cmpx_ge_i32_e64 s28, v1
	s_cbranch_execz .LBB18_22
; %bb.24:                               ;   in Loop: Header=BB18_23 Depth=1
	flat_load_dword v8, v[5:6]
	s_branch .LBB18_22
.LBB18_25:
	s_mov_b32 s17, 0
.LBB18_26:
	s_and_b32 vcc_lo, exec_lo, s17
	s_cbranch_vccz .LBB18_31
; %bb.27:
	s_lshl_b64 s[2:3], s[2:3], 2
	s_lshl_b64 s[18:19], s[18:19], 2
	v_ashrrev_i32_e32 v2, 31, v1
	s_add_u32 s17, s2, s18
	s_addc_u32 s18, s3, s19
	s_lshl_b64 s[2:3], s[14:15], 2
	s_add_u32 s2, s2, s17
	v_lshlrev_b64 v[5:6], 2, v[1:2]
	s_addc_u32 s3, s3, s18
	v_add_co_u32 v2, vcc_lo, s2, v3
	v_add_co_ci_u32_e64 v3, null, s3, v4, vcc_lo
	v_lshl_add_u32 v4, v1, 2, v7
	v_add_co_u32 v2, vcc_lo, v2, v5
	v_add_co_ci_u32_e64 v3, null, v3, v6, vcc_lo
	s_lshl_b64 s[2:3], s[10:11], 2
	v_add_co_u32 v2, vcc_lo, s12, v2
	v_add_co_ci_u32_e64 v3, null, s13, v3, vcc_lo
	s_lshl_b32 s10, s22, 2
	s_mov_b32 s11, 0
	s_branch .LBB18_29
	.p2align	6
.LBB18_28:                              ;   in Loop: Header=BB18_29 Depth=1
	s_or_b32 exec_lo, exec_lo, s12
	v_add_co_u32 v2, vcc_lo, v2, s2
	s_waitcnt vmcnt(0) lgkmcnt(0)
	ds_write_b32 v4, v5
	v_add_co_ci_u32_e64 v3, null, s3, v3, vcc_lo
	v_add_nc_u32_e32 v4, s10, v4
	s_add_i32 s11, s11, 1
	s_cmp_eq_u32 s22, s11
	s_cbranch_scc1 .LBB18_31
.LBB18_29:                              ; =>This Inner Loop Header: Depth=1
	v_mov_b32_e32 v5, 0
	s_mov_b32 s12, exec_lo
	v_cmpx_le_i32_e64 s11, v1
	s_cbranch_execz .LBB18_28
; %bb.30:                               ;   in Loop: Header=BB18_29 Depth=1
	flat_load_dword v5, v[2:3]
	s_branch .LBB18_28
.LBB18_31:
	s_or_b32 exec_lo, exec_lo, s16
	s_waitcnt lgkmcnt(0)
	s_barrier
	buffer_gl0_inv
	s_and_saveexec_b32 s2, s1
	s_cbranch_execz .LBB18_37
; %bb.32:
	s_add_i32 s3, s22, 1
	v_mov_b32_e32 v4, 1.0
	v_mul_i32_i24_e32 v2, s3, v1
	s_cmpk_eq_i32 s9, 0x84
	v_lshl_add_u32 v2, v2, 2, v7
	s_cbranch_scc1 .LBB18_36
; %bb.33:
	ds_read_b32 v3, v2
	v_mov_b32_e32 v4, 1.0
	s_mov_b32 s3, exec_lo
	s_waitcnt lgkmcnt(0)
	v_cmpx_neq_f32_e32 0, v3
	s_cbranch_execz .LBB18_35
; %bb.34:
	v_div_scale_f32 v4, null, v3, v3, 1.0
	v_rcp_f32_e32 v5, v4
	v_fma_f32 v6, -v4, v5, 1.0
	v_fmac_f32_e32 v5, v6, v5
	v_div_scale_f32 v6, vcc_lo, 1.0, v3, 1.0
	v_mul_f32_e32 v8, v6, v5
	v_fma_f32 v9, -v4, v8, v6
	v_fmac_f32_e32 v8, v9, v5
	v_fma_f32 v4, -v4, v8, v6
	v_div_fmas_f32 v4, v4, v5, v8
	v_div_fixup_f32 v4, v4, v3, 1.0
.LBB18_35:
	s_or_b32 exec_lo, exec_lo, s3
.LBB18_36:
	ds_write_b32 v2, v4
.LBB18_37:
	s_or_b32 exec_lo, exec_lo, s2
	s_waitcnt lgkmcnt(0)
	s_barrier
	buffer_gl0_inv
	s_and_saveexec_b32 s2, s1
	s_cbranch_execz .LBB18_49
; %bb.38:
	s_add_i32 s3, s22, 1
	v_lshlrev_b32_e32 v5, 2, v1
	v_mul_i32_i24_e32 v4, s3, v1
	s_lshl_b32 s3, s22, 2
	v_add_nc_u32_e32 v2, 4, v7
	s_add_i32 s9, s3, 4
	v_add_nc_u32_e32 v3, v7, v5
	v_lshl_add_u32 v4, v4, 2, v7
	v_add3_u32 v5, v5, s3, v7
	s_mov_b32 s10, 0
	s_branch .LBB18_40
.LBB18_39:                              ;   in Loop: Header=BB18_40 Depth=1
	s_inst_prefetch 0x2
	v_add_nc_u32_e32 v2, s9, v2
	v_add_nc_u32_e32 v5, s3, v5
	s_cmp_eq_u32 s10, s22
	s_cbranch_scc1 .LBB18_49
.LBB18_40:                              ; =>This Loop Header: Depth=1
                                        ;     Child Loop BB18_45 Depth 2
	v_mov_b32_e32 v6, 0
	s_mul_i32 s11, s10, s22
	s_mov_b32 s12, exec_lo
	v_cmpx_lt_i32_e64 s10, v1
	s_cbranch_execz .LBB18_42
; %bb.41:                               ;   in Loop: Header=BB18_40 Depth=1
	s_lshl_b32 s13, s11, 2
	s_lshl_b32 s14, s10, 2
	v_add_nc_u32_e32 v6, s13, v3
	v_add3_u32 v8, s13, s14, v7
	ds_read_b32 v6, v6
	ds_read_b32 v8, v8
	s_waitcnt lgkmcnt(0)
	v_fma_f32 v6, v6, v8, 0
.LBB18_42:                              ;   in Loop: Header=BB18_40 Depth=1
	s_or_b32 exec_lo, exec_lo, s12
	s_add_i32 s10, s10, 1
	s_cmp_ge_u32 s10, s22
	s_cbranch_scc1 .LBB18_39
; %bb.43:                               ;   in Loop: Header=BB18_40 Depth=1
	v_lshl_add_u32 v8, s11, 2, v3
	v_mov_b32_e32 v9, v5
	v_mov_b32_e32 v10, v2
	s_mov_b32 s11, s10
	s_inst_prefetch 0x1
	s_branch .LBB18_45
	.p2align	6
.LBB18_44:                              ;   in Loop: Header=BB18_45 Depth=2
	s_or_b32 exec_lo, exec_lo, s12
	v_add_nc_u32_e32 v10, 4, v10
	v_add_nc_u32_e32 v9, s3, v9
	s_add_i32 s11, s11, 1
	s_cmp_eq_u32 s22, s11
	s_cbranch_scc1 .LBB18_39
.LBB18_45:                              ;   Parent Loop BB18_40 Depth=1
                                        ; =>  This Inner Loop Header: Depth=2
	s_mov_b32 s12, exec_lo
	v_cmpx_eq_u32_e64 s11, v1
	s_cbranch_execz .LBB18_47
; %bb.46:                               ;   in Loop: Header=BB18_45 Depth=2
	ds_read_b32 v11, v4
	s_waitcnt lgkmcnt(0)
	v_mul_f32_e64 v11, -v6, v11
	ds_write_b32 v8, v11
.LBB18_47:                              ;   in Loop: Header=BB18_45 Depth=2
	s_or_b32 exec_lo, exec_lo, s12
	s_mov_b32 s12, exec_lo
	v_cmpx_lt_i32_e64 s11, v1
	s_cbranch_execz .LBB18_44
; %bb.48:                               ;   in Loop: Header=BB18_45 Depth=2
	ds_read_b32 v11, v9
	ds_read_b32 v12, v10
	s_waitcnt lgkmcnt(0)
	v_fmac_f32_e32 v6, v11, v12
	s_branch .LBB18_44
.LBB18_49:
	s_or_b32 exec_lo, exec_lo, s2
	s_and_b32 s2, s22, 0xffff
	v_cvt_f32_ubyte0_e32 v4, v0
	v_cvt_f32_u32_e32 v2, s2
	s_mul_i32 s2, s22, s22
	s_cmpk_lg_i32 s8, 0x7a
	v_cmp_gt_u32_e64 s2, s2, v0
	s_cselect_b32 s3, -1, 0
	v_rcp_iflag_f32_e32 v3, v2
	s_mov_b32 s8, -1
	s_waitcnt lgkmcnt(0)
	s_barrier
	buffer_gl0_inv
	v_mul_f32_e32 v3, v4, v3
	v_trunc_f32_e32 v3, v3
	v_fma_f32 v4, -v3, v2, v4
	v_cvt_u32_f32_e32 v3, v3
	v_cmp_ge_f32_e64 vcc_lo, |v4|, v2
	v_add_co_ci_u32_e64 v2, null, 0, v3, vcc_lo
	s_and_b32 vcc_lo, exec_lo, s3
	v_mul_lo_u16 v3, v2, s22
	v_and_b32_e32 v2, 0xffff, v2
	v_sub_nc_u16 v3, v0, v3
	v_and_b32_e32 v0, 0xffff, v3
	s_cbranch_vccz .LBB18_55
; %bb.50:
	s_and_saveexec_b32 s8, s2
	s_cbranch_execz .LBB18_54
; %bb.51:
	v_lshlrev_b32_e32 v3, 6, v2
	v_lshlrev_b32_e32 v5, 2, v0
	v_mov_b32_e32 v4, 0
	s_mov_b32 s10, -1
	s_mov_b32 s9, 0
	v_sub_nc_u32_e32 v6, 0xffc, v3
.LBB18_52:                              ; =>This Inner Loop Header: Depth=1
	ds_read_b32 v8, v5
	ds_read_b32 v9, v6
	s_add_i32 s10, s10, 1
	v_add_nc_u32_e32 v6, -4, v6
	v_cmp_ge_u32_e32 vcc_lo, s10, v2
	v_add_nc_u32_e32 v5, 64, v5
	s_or_b32 s9, vcc_lo, s9
	s_waitcnt lgkmcnt(0)
	v_fmac_f32_e32 v4, v8, v9
	s_andn2_b32 exec_lo, exec_lo, s9
	s_cbranch_execnz .LBB18_52
; %bb.53:
	s_or_b32 exec_lo, exec_lo, s9
	v_lshl_add_u32 v3, v0, 2, v3
	ds_write_b32 v3, v4 offset:1024
.LBB18_54:
	s_or_b32 exec_lo, exec_lo, s8
	s_mov_b32 s8, 0
.LBB18_55:
	s_andn2_b32 vcc_lo, exec_lo, s8
	s_cbranch_vccnz .LBB18_65
; %bb.56:
	s_and_saveexec_b32 s8, s2
	s_cbranch_execz .LBB18_64
; %bb.57:
	v_lshlrev_b32_e32 v3, 6, v2
	s_mov_b32 s9, exec_lo
	v_cmpx_lt_u16_e32 15, v2
	s_xor_b32 s9, exec_lo, s9
; %bb.58:
	v_lshlrev_b32_e32 v3, 6, v2
; %bb.59:
	s_or_saveexec_b32 s9, s9
	v_mov_b32_e32 v4, 0
	s_xor_b32 exec_lo, exec_lo, s9
	s_cbranch_execz .LBB18_63
; %bb.60:
	s_movk_i32 s10, 0x44
	v_add_nc_u32_e32 v5, -1, v2
	v_mad_u32_u24 v6, v2, s10, 0x800
	v_lshl_add_u32 v8, v0, 2, v3
	v_mov_b32_e32 v4, 0
	s_mov_b32 s10, 0
.LBB18_61:                              ; =>This Inner Loop Header: Depth=1
	ds_read_b32 v9, v8
	ds_read_b32 v10, v6
	v_add_nc_u32_e32 v5, 1, v5
	v_add_nc_u32_e32 v6, 4, v6
	;; [unrolled: 1-line block ×3, first 2 shown]
	v_cmp_lt_u32_e32 vcc_lo, 14, v5
	s_or_b32 s10, vcc_lo, s10
	s_waitcnt lgkmcnt(0)
	v_fmac_f32_e32 v4, v9, v10
	s_andn2_b32 exec_lo, exec_lo, s10
	s_cbranch_execnz .LBB18_61
; %bb.62:
	s_or_b32 exec_lo, exec_lo, s10
.LBB18_63:
	s_or_b32 exec_lo, exec_lo, s9
	v_lshl_add_u32 v3, v0, 2, v3
	ds_write_b32 v3, v4 offset:1024
.LBB18_64:
	s_or_b32 exec_lo, exec_lo, s8
.LBB18_65:
	s_clause 0x1
	s_load_dword s8, s[4:5], 0x48
	s_load_dwordx2 s[12:13], s[4:5], 0x58
	s_lshl_b64 s[4:5], s[20:21], 2
	s_waitcnt lgkmcnt(0)
	s_barrier
	buffer_gl0_inv
	s_ashr_i32 s9, s8, 31
	s_add_u32 s14, s6, s4
	s_addc_u32 s15, s7, s5
	s_lshl_b64 s[10:11], s[8:9], 5
	s_mul_i32 s13, s13, s24
	s_add_u32 s10, s10, 32
	s_addc_u32 s11, s11, 0
	s_mul_hi_u32 s16, s10, s25
	s_mul_i32 s11, s11, s25
	s_mul_i32 s10, s10, s25
	s_add_i32 s11, s16, s11
	s_mul_hi_u32 s16, s12, s24
	s_lshl_b64 s[10:11], s[10:11], 2
	s_mul_i32 s12, s12, s24
	s_add_u32 s14, s14, s10
	s_addc_u32 s15, s15, s11
	s_add_i32 s13, s16, s13
	s_mov_b32 s16, -1
	s_lshl_b64 s[12:13], s[12:13], 2
	s_add_u32 s14, s14, s12
	s_addc_u32 s15, s15, s13
	s_and_b32 vcc_lo, exec_lo, s3
	s_cbranch_vccnz .LBB18_68
; %bb.66:
	s_andn2_b32 vcc_lo, exec_lo, s16
	s_cbranch_vccz .LBB18_73
.LBB18_67:
	s_and_saveexec_b32 s2, s1
	s_cbranch_execnz .LBB18_78
	s_branch .LBB18_89
.LBB18_68:
	s_and_saveexec_b32 s16, s2
	s_cbranch_execz .LBB18_72
; %bb.69:
	v_lshlrev_b32_e32 v3, 2, v0
	s_lshl_b32 s18, s22, 2
	v_mul_u32_u24_e32 v5, s22, v2
	s_mov_b32 s17, 0
	v_sub_nc_u32_e32 v4, s18, v3
	s_sub_i32 s18, 0, s18
	v_lshlrev_b32_e32 v6, 2, v5
	v_add_nc_u32_e32 v5, -1, v0
	v_mul_i32_i24_e32 v4, s22, v4
	v_add3_u32 v6, v6, v3, 0x400
	v_sub_nc_u32_e32 v4, v4, v3
	v_add_nc_u32_e32 v8, 0x7fc, v4
	v_mov_b32_e32 v4, 0
.LBB18_70:                              ; =>This Inner Loop Header: Depth=1
	ds_read_b32 v9, v8
	ds_read_b32 v10, v6
	v_add_nc_u32_e32 v5, 1, v5
	v_add_nc_u32_e32 v6, 4, v6
	v_add_nc_u32_e32 v8, s18, v8
	v_cmp_lt_u32_e32 vcc_lo, 14, v5
	s_or_b32 s17, vcc_lo, s17
	s_waitcnt lgkmcnt(0)
	v_fma_f32 v4, -v9, v10, v4
	s_andn2_b32 exec_lo, exec_lo, s17
	s_cbranch_execnz .LBB18_70
; %bb.71:
	s_or_b32 exec_lo, exec_lo, s17
	v_mad_i64_i32 v[5:6], null, v2, s8, 0
	s_mul_hi_i32 s19, s22, s8
	s_mul_i32 s18, s22, s8
	s_lshl_b64 s[18:19], s[18:19], 2
	s_add_u32 s17, s14, s18
	v_lshlrev_b64 v[5:6], 2, v[5:6]
	s_addc_u32 s18, s15, s19
	v_add_co_u32 v3, s17, s17, v3
	v_add_co_ci_u32_e64 v8, null, s18, 0, s17
	v_add_co_u32 v5, vcc_lo, v3, v5
	v_add_co_ci_u32_e64 v6, null, v8, v6, vcc_lo
	flat_store_dword v[5:6], v4
.LBB18_72:
	s_or_b32 exec_lo, exec_lo, s16
	s_cbranch_execnz .LBB18_67
.LBB18_73:
	s_and_saveexec_b32 s16, s2
	s_cbranch_execz .LBB18_77
; %bb.74:
	v_mul_u32_u24_e32 v3, s22, v2
	v_lshl_add_u32 v4, v0, 2, 0xc00
	s_lshl_b32 s2, s22, 2
	s_mov_b32 s18, -1
	s_mov_b32 s17, 0
	v_lshl_add_u32 v5, v3, 2, 0x400
	v_mov_b32_e32 v3, 0
.LBB18_75:                              ; =>This Inner Loop Header: Depth=1
	ds_read_b32 v6, v4
	ds_read_b32 v8, v5
	s_add_i32 s18, s18, 1
	v_add_nc_u32_e32 v5, 4, v5
	v_cmp_ge_u32_e32 vcc_lo, s18, v0
	v_add_nc_u32_e32 v4, s2, v4
	s_or_b32 s17, vcc_lo, s17
	s_waitcnt lgkmcnt(0)
	v_fma_f32 v3, -v6, v8, v3
	s_andn2_b32 exec_lo, exec_lo, s17
	s_cbranch_execnz .LBB18_75
; %bb.76:
	s_or_b32 exec_lo, exec_lo, s17
	v_mad_i64_i32 v[4:5], null, v2, s8, 0
	v_add_lshl_u32 v0, s22, v0, 2
	v_lshlrev_b64 v[4:5], 2, v[4:5]
	v_add_co_u32 v2, vcc_lo, s14, v4
	v_add_co_ci_u32_e64 v5, null, s15, v5, vcc_lo
	v_add_co_u32 v4, vcc_lo, v2, v0
	v_add_co_ci_u32_e64 v5, null, 0, v5, vcc_lo
	flat_store_dword v[4:5], v3
.LBB18_77:
	s_or_b32 exec_lo, exec_lo, s16
	s_and_saveexec_b32 s2, s1
	s_cbranch_execz .LBB18_89
.LBB18_78:
	v_mov_b32_e32 v3, 0
	v_mov_b32_e32 v4, 0
	s_and_saveexec_b32 s1, s0
	s_cbranch_execnz .LBB18_81
; %bb.79:
	s_or_b32 exec_lo, exec_lo, s1
	s_and_b32 vcc_lo, exec_lo, s3
	s_mov_b32 s0, -1
	s_cbranch_vccnz .LBB18_82
.LBB18_80:
	s_andn2_b32 vcc_lo, exec_lo, s0
	s_cbranch_vccz .LBB18_86
	s_branch .LBB18_89
.LBB18_81:
	s_add_u32 s0, s8, 1
	s_addc_u32 s2, s9, 0
	s_mul_hi_u32 s16, s0, s22
	s_mul_i32 s2, s2, s22
	s_add_i32 s17, s16, s2
	s_mul_i32 s16, s0, s22
	v_mov_b32_e32 v3, s16
	v_mov_b32_e32 v4, s17
	s_or_b32 exec_lo, exec_lo, s1
	s_and_b32 vcc_lo, exec_lo, s3
	s_mov_b32 s0, -1
	s_cbranch_vccz .LBB18_80
.LBB18_82:
	s_mov_b32 s1, exec_lo
	v_cmpx_gt_i32_e64 s22, v1
	s_cbranch_execz .LBB18_85
; %bb.83:
	s_cmp_lt_u32 s23, 16
	v_ashrrev_i32_e32 v2, 31, v1
	s_cselect_b32 s0, s23, 16
	s_cselect_b32 s2, 0, 0
	s_add_u32 s0, s0, -1
	s_addc_u32 s2, s2, -1
	s_mul_i32 s3, s0, s9
	s_mul_hi_u32 s16, s0, s8
	s_mul_i32 s2, s2, s8
	s_add_i32 s3, s16, s3
	v_lshlrev_b64 v[5:6], 2, v[3:4]
	s_add_i32 s3, s3, s2
	s_mul_i32 s2, s0, s8
	v_lshlrev_b64 v[8:9], 2, v[1:2]
	s_lshl_b64 s[2:3], s[2:3], 2
	v_xad_u32 v0, v1, -1, s22
	s_add_u32 s0, s2, s12
	s_addc_u32 s2, s3, s13
	s_add_u32 s0, s0, s10
	s_addc_u32 s2, s2, s11
	;; [unrolled: 2-line block ×3, first 2 shown]
	v_add_co_u32 v2, vcc_lo, s0, v5
	v_add_co_ci_u32_e64 v5, null, s2, v6, vcc_lo
	v_lshl_add_u32 v0, v0, 2, v7
	v_add_co_u32 v2, vcc_lo, v2, v8
	v_add_co_ci_u32_e64 v6, null, v5, v9, vcc_lo
	s_lshl_b64 s[4:5], s[8:9], 2
	v_add_co_u32 v5, vcc_lo, s6, v2
	v_add_co_ci_u32_e64 v6, null, s7, v6, vcc_lo
	s_sub_u32 s3, 0, s4
	s_mov_b32 s2, 0
	s_subb_u32 s4, 0, s5
	s_lshl_b32 s5, s22, 2
	s_mov_b32 s6, s22
.LBB18_84:                              ; =>This Inner Loop Header: Depth=1
	ds_read_b32 v2, v0
	s_add_i32 s6, s6, -1
	v_add_nc_u32_e32 v0, s5, v0
	v_cmp_le_i32_e32 vcc_lo, s6, v1
	s_or_b32 s2, vcc_lo, s2
	s_waitcnt lgkmcnt(0)
	flat_store_dword v[5:6], v2
	v_add_co_u32 v5, s0, v5, s3
	v_add_co_ci_u32_e64 v6, null, s4, v6, s0
	s_andn2_b32 exec_lo, exec_lo, s2
	s_cbranch_execnz .LBB18_84
.LBB18_85:
	s_or_b32 exec_lo, exec_lo, s1
	s_cbranch_execnz .LBB18_89
.LBB18_86:
	v_cmp_lt_i32_e32 vcc_lo, -1, v1
	s_and_b32 exec_lo, exec_lo, vcc_lo
	s_cbranch_execz .LBB18_89
; %bb.87:
	v_mov_b32_e32 v2, 0
	v_lshlrev_b64 v[3:4], 2, v[3:4]
	v_lshl_add_u32 v0, v1, 2, v7
	s_lshl_b64 s[2:3], s[8:9], 2
	s_lshl_b32 s1, s22, 2
	v_lshlrev_b64 v[5:6], 2, v[1:2]
	v_add_nc_u32_e32 v1, 1, v1
	v_add_co_u32 v2, vcc_lo, s14, v3
	v_add_co_ci_u32_e64 v3, null, s15, v4, vcc_lo
	s_mov_b32 s4, 0
	v_add_co_u32 v2, vcc_lo, v2, v5
	v_add_co_ci_u32_e64 v3, null, v3, v6, vcc_lo
.LBB18_88:                              ; =>This Inner Loop Header: Depth=1
	ds_read_b32 v4, v0
	v_add_nc_u32_e32 v1, -1, v1
	v_add_nc_u32_e32 v0, s1, v0
	v_cmp_eq_u32_e32 vcc_lo, 0, v1
	s_or_b32 s4, vcc_lo, s4
	s_waitcnt lgkmcnt(0)
	flat_store_dword v[2:3], v4
	v_add_co_u32 v2, s0, v2, s2
	v_add_co_ci_u32_e64 v3, null, s3, v3, s0
	s_andn2_b32 exec_lo, exec_lo, s4
	s_cbranch_execnz .LBB18_88
.LBB18_89:
	s_endpgm
	.section	.rodata,"a",@progbits
	.p2align	6, 0x0
	.amdhsa_kernel _ZL29rocblas_trtri_diagonal_kernelILi16EfPKPKfPKPfEv13rocblas_fill_17rocblas_diagonal_iT1_lillT2_lilli
		.amdhsa_group_segment_fixed_size 4096
		.amdhsa_private_segment_fixed_size 0
		.amdhsa_kernarg_size 100
		.amdhsa_user_sgpr_count 6
		.amdhsa_user_sgpr_private_segment_buffer 1
		.amdhsa_user_sgpr_dispatch_ptr 0
		.amdhsa_user_sgpr_queue_ptr 0
		.amdhsa_user_sgpr_kernarg_segment_ptr 1
		.amdhsa_user_sgpr_dispatch_id 0
		.amdhsa_user_sgpr_flat_scratch_init 0
		.amdhsa_user_sgpr_private_segment_size 0
		.amdhsa_wavefront_size32 1
		.amdhsa_uses_dynamic_stack 0
		.amdhsa_system_sgpr_private_segment_wavefront_offset 0
		.amdhsa_system_sgpr_workgroup_id_x 1
		.amdhsa_system_sgpr_workgroup_id_y 0
		.amdhsa_system_sgpr_workgroup_id_z 1
		.amdhsa_system_sgpr_workgroup_info 0
		.amdhsa_system_vgpr_workitem_id 0
		.amdhsa_next_free_vgpr 13
		.amdhsa_next_free_sgpr 37
		.amdhsa_reserve_vcc 1
		.amdhsa_reserve_flat_scratch 0
		.amdhsa_float_round_mode_32 0
		.amdhsa_float_round_mode_16_64 0
		.amdhsa_float_denorm_mode_32 3
		.amdhsa_float_denorm_mode_16_64 3
		.amdhsa_dx10_clamp 1
		.amdhsa_ieee_mode 1
		.amdhsa_fp16_overflow 0
		.amdhsa_workgroup_processor_mode 1
		.amdhsa_memory_ordered 1
		.amdhsa_forward_progress 1
		.amdhsa_shared_vgpr_count 0
		.amdhsa_exception_fp_ieee_invalid_op 0
		.amdhsa_exception_fp_denorm_src 0
		.amdhsa_exception_fp_ieee_div_zero 0
		.amdhsa_exception_fp_ieee_overflow 0
		.amdhsa_exception_fp_ieee_underflow 0
		.amdhsa_exception_fp_ieee_inexact 0
		.amdhsa_exception_int_div_zero 0
	.end_amdhsa_kernel
	.section	.text._ZL29rocblas_trtri_diagonal_kernelILi16EfPKPKfPKPfEv13rocblas_fill_17rocblas_diagonal_iT1_lillT2_lilli,"axG",@progbits,_ZL29rocblas_trtri_diagonal_kernelILi16EfPKPKfPKPfEv13rocblas_fill_17rocblas_diagonal_iT1_lillT2_lilli,comdat
.Lfunc_end18:
	.size	_ZL29rocblas_trtri_diagonal_kernelILi16EfPKPKfPKPfEv13rocblas_fill_17rocblas_diagonal_iT1_lillT2_lilli, .Lfunc_end18-_ZL29rocblas_trtri_diagonal_kernelILi16EfPKPKfPKPfEv13rocblas_fill_17rocblas_diagonal_iT1_lillT2_lilli
                                        ; -- End function
	.set _ZL29rocblas_trtri_diagonal_kernelILi16EfPKPKfPKPfEv13rocblas_fill_17rocblas_diagonal_iT1_lillT2_lilli.num_vgpr, 13
	.set _ZL29rocblas_trtri_diagonal_kernelILi16EfPKPKfPKPfEv13rocblas_fill_17rocblas_diagonal_iT1_lillT2_lilli.num_agpr, 0
	.set _ZL29rocblas_trtri_diagonal_kernelILi16EfPKPKfPKPfEv13rocblas_fill_17rocblas_diagonal_iT1_lillT2_lilli.numbered_sgpr, 37
	.set _ZL29rocblas_trtri_diagonal_kernelILi16EfPKPKfPKPfEv13rocblas_fill_17rocblas_diagonal_iT1_lillT2_lilli.num_named_barrier, 0
	.set _ZL29rocblas_trtri_diagonal_kernelILi16EfPKPKfPKPfEv13rocblas_fill_17rocblas_diagonal_iT1_lillT2_lilli.private_seg_size, 0
	.set _ZL29rocblas_trtri_diagonal_kernelILi16EfPKPKfPKPfEv13rocblas_fill_17rocblas_diagonal_iT1_lillT2_lilli.uses_vcc, 1
	.set _ZL29rocblas_trtri_diagonal_kernelILi16EfPKPKfPKPfEv13rocblas_fill_17rocblas_diagonal_iT1_lillT2_lilli.uses_flat_scratch, 0
	.set _ZL29rocblas_trtri_diagonal_kernelILi16EfPKPKfPKPfEv13rocblas_fill_17rocblas_diagonal_iT1_lillT2_lilli.has_dyn_sized_stack, 0
	.set _ZL29rocblas_trtri_diagonal_kernelILi16EfPKPKfPKPfEv13rocblas_fill_17rocblas_diagonal_iT1_lillT2_lilli.has_recursion, 0
	.set _ZL29rocblas_trtri_diagonal_kernelILi16EfPKPKfPKPfEv13rocblas_fill_17rocblas_diagonal_iT1_lillT2_lilli.has_indirect_call, 0
	.section	.AMDGPU.csdata,"",@progbits
; Kernel info:
; codeLenInByte = 3396
; TotalNumSgprs: 39
; NumVgprs: 13
; ScratchSize: 0
; MemoryBound: 0
; FloatMode: 240
; IeeeMode: 1
; LDSByteSize: 4096 bytes/workgroup (compile time only)
; SGPRBlocks: 0
; VGPRBlocks: 1
; NumSGPRsForWavesPerEU: 39
; NumVGPRsForWavesPerEU: 13
; Occupancy: 16
; WaveLimiterHint : 1
; COMPUTE_PGM_RSRC2:SCRATCH_EN: 0
; COMPUTE_PGM_RSRC2:USER_SGPR: 6
; COMPUTE_PGM_RSRC2:TRAP_HANDLER: 0
; COMPUTE_PGM_RSRC2:TGID_X_EN: 1
; COMPUTE_PGM_RSRC2:TGID_Y_EN: 0
; COMPUTE_PGM_RSRC2:TGID_Z_EN: 1
; COMPUTE_PGM_RSRC2:TIDIG_COMP_CNT: 0
	.section	.text._ZL30rocblas_trtri_remainder_kernelILi16EfPKPKfPKPfEv13rocblas_fill_17rocblas_diagonal_iT1_lillT2_lilli,"axG",@progbits,_ZL30rocblas_trtri_remainder_kernelILi16EfPKPKfPKPfEv13rocblas_fill_17rocblas_diagonal_iT1_lillT2_lilli,comdat
	.globl	_ZL30rocblas_trtri_remainder_kernelILi16EfPKPKfPKPfEv13rocblas_fill_17rocblas_diagonal_iT1_lillT2_lilli ; -- Begin function _ZL30rocblas_trtri_remainder_kernelILi16EfPKPKfPKPfEv13rocblas_fill_17rocblas_diagonal_iT1_lillT2_lilli
	.p2align	8
	.type	_ZL30rocblas_trtri_remainder_kernelILi16EfPKPKfPKPfEv13rocblas_fill_17rocblas_diagonal_iT1_lillT2_lilli,@function
_ZL30rocblas_trtri_remainder_kernelILi16EfPKPKfPKPfEv13rocblas_fill_17rocblas_diagonal_iT1_lillT2_lilli: ; @_ZL30rocblas_trtri_remainder_kernelILi16EfPKPKfPKPfEv13rocblas_fill_17rocblas_diagonal_iT1_lillT2_lilli
; %bb.0:
	s_load_dwordx4 s[8:11], s[4:5], 0x0
	s_waitcnt lgkmcnt(0)
	s_cmp_lt_i32 s10, 1
	s_cbranch_scc1 .LBB19_36
; %bb.1:
	s_clause 0x1
	s_load_dwordx4 s[16:19], s[4:5], 0x30
	s_load_dwordx2 s[20:21], s[4:5], 0x40
	s_mov_b32 s0, s7
	s_mov_b32 s1, 0
	s_lshl_b64 s[2:3], s[0:1], 3
	s_waitcnt lgkmcnt(0)
	s_add_u32 s0, s18, s2
	s_addc_u32 s1, s19, s3
	s_load_dwordx2 s[18:19], s[0:1], 0x0
	v_cmp_le_u32_e64 s1, s10, v0
	v_cmp_gt_u32_e64 s0, s10, v0
	s_and_saveexec_b32 s7, s0
	s_cbranch_execz .LBB19_9
; %bb.2:
	s_clause 0x1
	s_load_dwordx4 s[12:15], s[4:5], 0x10
	s_load_dword s22, s[4:5], 0x20
	s_waitcnt lgkmcnt(0)
	s_add_u32 s2, s12, s2
	s_addc_u32 s3, s13, s3
	s_load_dwordx2 s[12:13], s[2:3], 0x0
	s_mul_i32 s2, s17, s6
	s_mul_hi_u32 s3, s16, s6
	s_mul_i32 s16, s16, s6
	s_add_i32 s17, s3, s2
	s_cmpk_lg_i32 s8, 0x7a
	s_mov_b32 s2, -1
	s_cbranch_scc0 .LBB19_6
; %bb.3:
	s_add_i32 s2, s10, -1
	s_ashr_i32 s23, s22, 31
	s_mul_hi_u32 s11, s22, s2
	s_mul_i32 s3, s23, s2
	v_sub_nc_u32_e32 v1, s2, v0
	s_add_i32 s3, s11, s3
	s_mul_i32 s2, s22, s2
	s_lshl_b64 s[24:25], s[16:17], 2
	s_lshl_b64 s[26:27], s[2:3], 2
	s_lshl_b32 s3, s10, 2
	s_add_u32 s2, s24, s26
	s_addc_u32 s11, s25, s27
	s_lshl_b64 s[24:25], s[14:15], 2
	v_lshlrev_b32_e32 v3, 2, v1
	v_lshlrev_b32_e32 v1, 2, v0
	s_add_u32 s2, s2, s24
	s_addc_u32 s11, s11, s25
	s_waitcnt lgkmcnt(0)
	s_add_u32 s2, s12, s2
	s_addc_u32 s11, s13, s11
	v_add_co_u32 v1, s2, s2, v1
	s_lshl_b64 s[24:25], s[22:23], 2
	v_add_co_ci_u32_e64 v2, null, s11, 0, s2
	s_sub_u32 s11, 0, s24
	s_subb_u32 s24, 0, s25
	s_mov_b32 s23, 0
	s_mov_b32 s25, s10
.LBB19_4:                               ; =>This Inner Loop Header: Depth=1
	flat_load_dword v4, v[1:2]
	s_add_i32 s25, s25, -1
	v_add_co_u32 v1, vcc_lo, v1, s11
	v_cmp_le_u32_e64 s2, s25, v0
	v_add_co_ci_u32_e64 v2, null, s24, v2, vcc_lo
	s_or_b32 s23, s2, s23
	s_waitcnt vmcnt(0) lgkmcnt(0)
	ds_write_b32 v3, v4
	v_add_nc_u32_e32 v3, s3, v3
	s_andn2_b32 exec_lo, exec_lo, s23
	s_cbranch_execnz .LBB19_4
; %bb.5:
	s_or_b32 exec_lo, exec_lo, s23
	s_mov_b32 s2, 0
.LBB19_6:
	s_and_b32 vcc_lo, exec_lo, s2
	s_cbranch_vccz .LBB19_9
; %bb.7:
	s_lshl_b64 s[2:3], s[14:15], 2
	v_lshlrev_b32_e32 v3, 2, v0
	s_waitcnt lgkmcnt(0)
	s_add_u32 s11, s12, s2
	s_addc_u32 s12, s13, s3
	s_lshl_b64 s[2:3], s[16:17], 2
	v_add_nc_u32_e32 v4, 1, v0
	s_add_u32 s2, s11, s2
	s_addc_u32 s3, s12, s3
	v_add_co_u32 v1, s2, s2, v3
	v_add_co_ci_u32_e64 v2, null, s3, 0, s2
	s_ashr_i32 s23, s22, 31
	s_lshl_b32 s3, s10, 2
	s_lshl_b64 s[12:13], s[22:23], 2
	s_mov_b32 s11, 0
.LBB19_8:                               ; =>This Inner Loop Header: Depth=1
	flat_load_dword v5, v[1:2]
	v_add_nc_u32_e32 v4, -1, v4
	v_add_co_u32 v1, vcc_lo, v1, s12
	v_add_co_ci_u32_e64 v2, null, s13, v2, vcc_lo
	v_cmp_eq_u32_e64 s2, 0, v4
	s_or_b32 s11, s2, s11
	s_waitcnt vmcnt(0) lgkmcnt(0)
	ds_write_b32 v3, v5
	v_add_nc_u32_e32 v3, s3, v3
	s_andn2_b32 exec_lo, exec_lo, s11
	s_cbranch_execnz .LBB19_8
.LBB19_9:
	s_or_b32 exec_lo, exec_lo, s7
	s_waitcnt lgkmcnt(0)
	s_barrier
	buffer_gl0_inv
                                        ; implicit-def: $vgpr1
	s_and_saveexec_b32 s2, s1
	s_xor_b32 s1, exec_lo, s2
; %bb.10:
	v_mad_u64_u32 v[1:2], null, v0, s10, v[0:1]
; %bb.11:
	s_andn2_saveexec_b32 s1, s1
	s_cbranch_execz .LBB19_17
; %bb.12:
	v_mad_u64_u32 v[1:2], null, v0, s10, v[0:1]
	v_mov_b32_e32 v4, 1.0
	s_cmpk_eq_i32 s9, 0x84
	v_lshlrev_b32_e32 v2, 2, v1
	s_cbranch_scc1 .LBB19_16
; %bb.13:
	ds_read_b32 v3, v2
	v_mov_b32_e32 v4, 1.0
	s_mov_b32 s2, exec_lo
	s_waitcnt lgkmcnt(0)
	v_cmpx_neq_f32_e32 0, v3
	s_cbranch_execz .LBB19_15
; %bb.14:
	v_div_scale_f32 v4, null, v3, v3, 1.0
	v_rcp_f32_e32 v5, v4
	v_fma_f32 v6, -v4, v5, 1.0
	v_fmac_f32_e32 v5, v6, v5
	v_div_scale_f32 v6, vcc_lo, 1.0, v3, 1.0
	v_mul_f32_e32 v7, v6, v5
	v_fma_f32 v8, -v4, v7, v6
	v_fmac_f32_e32 v7, v8, v5
	v_fma_f32 v4, -v4, v7, v6
	v_div_fmas_f32 v4, v4, v5, v7
	v_div_fixup_f32 v4, v4, v3, 1.0
.LBB19_15:
	s_or_b32 exec_lo, exec_lo, s2
.LBB19_16:
	ds_write_b32 v2, v4
.LBB19_17:
	s_or_b32 exec_lo, exec_lo, s1
	v_lshlrev_b32_e32 v3, 2, v0
	s_lshl_b32 s1, s10, 2
	v_lshlrev_b32_e32 v1, 2, v1
	s_mov_b32 s2, 4
	s_add_i32 s3, s1, 4
	v_add_nc_u32_e32 v2, s1, v3
	s_mov_b32 s7, 0
	s_waitcnt lgkmcnt(0)
	s_barrier
	buffer_gl0_inv
	s_branch .LBB19_19
.LBB19_18:                              ;   in Loop: Header=BB19_19 Depth=1
	s_inst_prefetch 0x2
	v_add_nc_u32_e32 v2, s1, v2
	s_add_i32 s2, s2, s3
	s_cmp_eq_u32 s7, s10
	s_barrier
	buffer_gl0_inv
	s_cbranch_scc1 .LBB19_28
.LBB19_19:                              ; =>This Loop Header: Depth=1
                                        ;     Child Loop BB19_24 Depth 2
	v_mov_b32_e32 v4, 0
	s_mul_i32 s9, s7, s10
	s_mov_b32 s11, exec_lo
	v_cmpx_lt_u32_e64 s7, v0
	s_cbranch_execz .LBB19_21
; %bb.20:                               ;   in Loop: Header=BB19_19 Depth=1
	s_lshl_b32 s12, s7, 2
	s_lshl_b32 s13, s9, 2
	s_add_i32 s12, s12, s13
	v_add_nc_u32_e32 v4, s13, v3
	v_mov_b32_e32 v5, s12
	ds_read_b32 v4, v4
	ds_read_b32 v5, v5
	s_waitcnt lgkmcnt(0)
	v_fma_f32 v4, v4, v5, 0
.LBB19_21:                              ;   in Loop: Header=BB19_19 Depth=1
	s_or_b32 exec_lo, exec_lo, s11
	s_add_i32 s7, s7, 1
	s_cmp_ge_i32 s7, s10
	s_barrier
	buffer_gl0_inv
	s_cbranch_scc1 .LBB19_18
; %bb.22:                               ;   in Loop: Header=BB19_19 Depth=1
	v_lshl_add_u32 v5, s9, 2, v3
	v_mov_b32_e32 v6, v2
	s_mov_b32 s9, s2
	s_mov_b32 s11, s7
	s_inst_prefetch 0x1
	s_branch .LBB19_24
	.p2align	6
.LBB19_23:                              ;   in Loop: Header=BB19_24 Depth=2
	s_or_b32 exec_lo, exec_lo, s12
	v_add_nc_u32_e32 v6, s1, v6
	s_add_i32 s11, s11, 1
	s_add_i32 s9, s9, 4
	s_cmp_eq_u32 s10, s11
	s_barrier
	buffer_gl0_inv
	s_cbranch_scc1 .LBB19_18
.LBB19_24:                              ;   Parent Loop BB19_19 Depth=1
                                        ; =>  This Inner Loop Header: Depth=2
	s_mov_b32 s12, exec_lo
	v_cmpx_eq_u32_e64 s11, v0
	s_cbranch_execz .LBB19_26
; %bb.25:                               ;   in Loop: Header=BB19_24 Depth=2
	ds_read_b32 v7, v1
	s_waitcnt lgkmcnt(0)
	v_mul_f32_e64 v7, -v4, v7
	ds_write_b32 v5, v7
.LBB19_26:                              ;   in Loop: Header=BB19_24 Depth=2
	s_or_b32 exec_lo, exec_lo, s12
	s_mov_b32 s12, exec_lo
	s_waitcnt lgkmcnt(0)
	s_barrier
	buffer_gl0_inv
	v_cmpx_lt_u32_e64 s11, v0
	s_cbranch_execz .LBB19_23
; %bb.27:                               ;   in Loop: Header=BB19_24 Depth=2
	v_mov_b32_e32 v7, s9
	ds_read_b32 v8, v6
	ds_read_b32 v7, v7
	s_waitcnt lgkmcnt(0)
	v_fmac_f32_e32 v4, v8, v7
	s_branch .LBB19_23
.LBB19_28:
	s_and_saveexec_b32 s2, s0
	s_cbranch_execz .LBB19_36
; %bb.29:
	s_clause 0x1
	s_load_dwordx2 s[12:13], s[4:5], 0x58
	s_load_dword s2, s[4:5], 0x48
	s_waitcnt lgkmcnt(0)
	s_mul_i32 s0, s13, s6
	s_mul_hi_u32 s3, s12, s6
	s_mul_i32 s4, s12, s6
	s_add_i32 s5, s3, s0
	s_cmpk_lg_i32 s8, 0x7a
	s_mov_b32 s0, -1
	s_cbranch_scc0 .LBB19_33
; %bb.30:
	s_add_i32 s0, s10, -1
	s_ashr_i32 s3, s2, 31
	s_mul_hi_u32 s7, s2, s0
	s_mul_i32 s6, s3, s0
	v_sub_nc_u32_e32 v1, s0, v0
	s_add_i32 s7, s7, s6
	s_mul_i32 s6, s2, s0
	s_lshl_b64 s[8:9], s[4:5], 2
	s_lshl_b64 s[6:7], s[6:7], 2
	v_lshlrev_b32_e32 v4, 2, v1
	s_add_u32 s0, s8, s6
	s_addc_u32 s8, s9, s7
	s_lshl_b64 s[6:7], s[20:21], 2
	v_lshlrev_b32_e32 v1, 2, v0
	s_add_u32 s0, s0, s6
	s_addc_u32 s6, s8, s7
	s_add_u32 s0, s18, s0
	s_addc_u32 s8, s19, s6
	v_add_co_u32 v1, s0, s0, v1
	s_lshl_b64 s[6:7], s[2:3], 2
	v_add_co_ci_u32_e64 v2, null, s8, 0, s0
	s_sub_u32 s3, 0, s6
	s_subb_u32 s7, 0, s7
	s_mov_b32 s6, 0
.LBB19_31:                              ; =>This Inner Loop Header: Depth=1
	ds_read_b32 v5, v4
	s_add_i32 s10, s10, -1
	v_add_nc_u32_e32 v4, s1, v4
	v_cmp_le_u32_e32 vcc_lo, s10, v0
	s_or_b32 s6, vcc_lo, s6
	s_waitcnt lgkmcnt(0)
	flat_store_dword v[1:2], v5
	v_add_co_u32 v1, s0, v1, s3
	v_add_co_ci_u32_e64 v2, null, s7, v2, s0
	s_andn2_b32 exec_lo, exec_lo, s6
	s_cbranch_execnz .LBB19_31
; %bb.32:
	s_or_b32 exec_lo, exec_lo, s6
	s_mov_b32 s0, 0
.LBB19_33:
	s_and_b32 vcc_lo, exec_lo, s0
	s_cbranch_vccz .LBB19_36
; %bb.34:
	s_lshl_b64 s[6:7], s[20:21], 2
	v_lshlrev_b32_e32 v1, 2, v0
	s_add_u32 s0, s18, s6
	s_addc_u32 s3, s19, s7
	s_lshl_b64 s[4:5], s[4:5], 2
	v_add_nc_u32_e32 v0, 1, v0
	s_add_u32 s0, s0, s4
	s_addc_u32 s4, s3, s5
	v_add_co_u32 v1, s0, s0, v1
	v_add_co_ci_u32_e64 v2, null, s4, 0, s0
	s_ashr_i32 s3, s2, 31
	s_mov_b32 s4, 0
	s_lshl_b64 s[2:3], s[2:3], 2
.LBB19_35:                              ; =>This Inner Loop Header: Depth=1
	ds_read_b32 v4, v3
	v_add_nc_u32_e32 v0, -1, v0
	v_add_nc_u32_e32 v3, s1, v3
	v_cmp_eq_u32_e32 vcc_lo, 0, v0
	s_or_b32 s4, vcc_lo, s4
	s_waitcnt lgkmcnt(0)
	flat_store_dword v[1:2], v4
	v_add_co_u32 v1, s0, v1, s2
	v_add_co_ci_u32_e64 v2, null, s3, v2, s0
	s_andn2_b32 exec_lo, exec_lo, s4
	s_cbranch_execnz .LBB19_35
.LBB19_36:
	s_endpgm
	.section	.rodata,"a",@progbits
	.p2align	6, 0x0
	.amdhsa_kernel _ZL30rocblas_trtri_remainder_kernelILi16EfPKPKfPKPfEv13rocblas_fill_17rocblas_diagonal_iT1_lillT2_lilli
		.amdhsa_group_segment_fixed_size 4096
		.amdhsa_private_segment_fixed_size 0
		.amdhsa_kernarg_size 100
		.amdhsa_user_sgpr_count 6
		.amdhsa_user_sgpr_private_segment_buffer 1
		.amdhsa_user_sgpr_dispatch_ptr 0
		.amdhsa_user_sgpr_queue_ptr 0
		.amdhsa_user_sgpr_kernarg_segment_ptr 1
		.amdhsa_user_sgpr_dispatch_id 0
		.amdhsa_user_sgpr_flat_scratch_init 0
		.amdhsa_user_sgpr_private_segment_size 0
		.amdhsa_wavefront_size32 1
		.amdhsa_uses_dynamic_stack 0
		.amdhsa_system_sgpr_private_segment_wavefront_offset 0
		.amdhsa_system_sgpr_workgroup_id_x 1
		.amdhsa_system_sgpr_workgroup_id_y 0
		.amdhsa_system_sgpr_workgroup_id_z 1
		.amdhsa_system_sgpr_workgroup_info 0
		.amdhsa_system_vgpr_workitem_id 0
		.amdhsa_next_free_vgpr 9
		.amdhsa_next_free_sgpr 28
		.amdhsa_reserve_vcc 1
		.amdhsa_reserve_flat_scratch 0
		.amdhsa_float_round_mode_32 0
		.amdhsa_float_round_mode_16_64 0
		.amdhsa_float_denorm_mode_32 3
		.amdhsa_float_denorm_mode_16_64 3
		.amdhsa_dx10_clamp 1
		.amdhsa_ieee_mode 1
		.amdhsa_fp16_overflow 0
		.amdhsa_workgroup_processor_mode 1
		.amdhsa_memory_ordered 1
		.amdhsa_forward_progress 1
		.amdhsa_shared_vgpr_count 0
		.amdhsa_exception_fp_ieee_invalid_op 0
		.amdhsa_exception_fp_denorm_src 0
		.amdhsa_exception_fp_ieee_div_zero 0
		.amdhsa_exception_fp_ieee_overflow 0
		.amdhsa_exception_fp_ieee_underflow 0
		.amdhsa_exception_fp_ieee_inexact 0
		.amdhsa_exception_int_div_zero 0
	.end_amdhsa_kernel
	.section	.text._ZL30rocblas_trtri_remainder_kernelILi16EfPKPKfPKPfEv13rocblas_fill_17rocblas_diagonal_iT1_lillT2_lilli,"axG",@progbits,_ZL30rocblas_trtri_remainder_kernelILi16EfPKPKfPKPfEv13rocblas_fill_17rocblas_diagonal_iT1_lillT2_lilli,comdat
.Lfunc_end19:
	.size	_ZL30rocblas_trtri_remainder_kernelILi16EfPKPKfPKPfEv13rocblas_fill_17rocblas_diagonal_iT1_lillT2_lilli, .Lfunc_end19-_ZL30rocblas_trtri_remainder_kernelILi16EfPKPKfPKPfEv13rocblas_fill_17rocblas_diagonal_iT1_lillT2_lilli
                                        ; -- End function
	.set _ZL30rocblas_trtri_remainder_kernelILi16EfPKPKfPKPfEv13rocblas_fill_17rocblas_diagonal_iT1_lillT2_lilli.num_vgpr, 9
	.set _ZL30rocblas_trtri_remainder_kernelILi16EfPKPKfPKPfEv13rocblas_fill_17rocblas_diagonal_iT1_lillT2_lilli.num_agpr, 0
	.set _ZL30rocblas_trtri_remainder_kernelILi16EfPKPKfPKPfEv13rocblas_fill_17rocblas_diagonal_iT1_lillT2_lilli.numbered_sgpr, 28
	.set _ZL30rocblas_trtri_remainder_kernelILi16EfPKPKfPKPfEv13rocblas_fill_17rocblas_diagonal_iT1_lillT2_lilli.num_named_barrier, 0
	.set _ZL30rocblas_trtri_remainder_kernelILi16EfPKPKfPKPfEv13rocblas_fill_17rocblas_diagonal_iT1_lillT2_lilli.private_seg_size, 0
	.set _ZL30rocblas_trtri_remainder_kernelILi16EfPKPKfPKPfEv13rocblas_fill_17rocblas_diagonal_iT1_lillT2_lilli.uses_vcc, 1
	.set _ZL30rocblas_trtri_remainder_kernelILi16EfPKPKfPKPfEv13rocblas_fill_17rocblas_diagonal_iT1_lillT2_lilli.uses_flat_scratch, 0
	.set _ZL30rocblas_trtri_remainder_kernelILi16EfPKPKfPKPfEv13rocblas_fill_17rocblas_diagonal_iT1_lillT2_lilli.has_dyn_sized_stack, 0
	.set _ZL30rocblas_trtri_remainder_kernelILi16EfPKPKfPKPfEv13rocblas_fill_17rocblas_diagonal_iT1_lillT2_lilli.has_recursion, 0
	.set _ZL30rocblas_trtri_remainder_kernelILi16EfPKPKfPKPfEv13rocblas_fill_17rocblas_diagonal_iT1_lillT2_lilli.has_indirect_call, 0
	.section	.AMDGPU.csdata,"",@progbits
; Kernel info:
; codeLenInByte = 1408
; TotalNumSgprs: 30
; NumVgprs: 9
; ScratchSize: 0
; MemoryBound: 0
; FloatMode: 240
; IeeeMode: 1
; LDSByteSize: 4096 bytes/workgroup (compile time only)
; SGPRBlocks: 0
; VGPRBlocks: 1
; NumSGPRsForWavesPerEU: 30
; NumVGPRsForWavesPerEU: 9
; Occupancy: 16
; WaveLimiterHint : 0
; COMPUTE_PGM_RSRC2:SCRATCH_EN: 0
; COMPUTE_PGM_RSRC2:USER_SGPR: 6
; COMPUTE_PGM_RSRC2:TRAP_HANDLER: 0
; COMPUTE_PGM_RSRC2:TGID_X_EN: 1
; COMPUTE_PGM_RSRC2:TGID_Y_EN: 0
; COMPUTE_PGM_RSRC2:TGID_Z_EN: 1
; COMPUTE_PGM_RSRC2:TIDIG_COMP_CNT: 0
	.section	.text._ZL18rocblas_trtri_fillILi128EdPKPdEvP15_rocblas_handle13rocblas_fill_ililT1_llii,"axG",@progbits,_ZL18rocblas_trtri_fillILi128EdPKPdEvP15_rocblas_handle13rocblas_fill_ililT1_llii,comdat
	.globl	_ZL18rocblas_trtri_fillILi128EdPKPdEvP15_rocblas_handle13rocblas_fill_ililT1_llii ; -- Begin function _ZL18rocblas_trtri_fillILi128EdPKPdEvP15_rocblas_handle13rocblas_fill_ililT1_llii
	.p2align	8
	.type	_ZL18rocblas_trtri_fillILi128EdPKPdEvP15_rocblas_handle13rocblas_fill_ililT1_llii,@function
_ZL18rocblas_trtri_fillILi128EdPKPdEvP15_rocblas_handle13rocblas_fill_ililT1_llii: ; @_ZL18rocblas_trtri_fillILi128EdPKPdEvP15_rocblas_handle13rocblas_fill_ililT1_llii
; %bb.0:
	s_clause 0x1
	s_load_dword s1, s[4:5], 0x40
	s_load_dwordx2 s[2:3], s[4:5], 0x10
	s_mov_b32 s0, s7
	s_mov_b32 s7, 0
	s_lshl_b64 s[8:9], s[6:7], 7
	v_or_b32_e32 v0, s8, v0
	v_mov_b32_e32 v1, s9
	s_waitcnt lgkmcnt(0)
	s_ashr_i32 s6, s1, 31
	s_mul_hi_u32 s8, s2, s1
	s_mul_i32 s6, s2, s6
	s_mul_i32 s9, s3, s1
	s_add_i32 s6, s8, s6
	s_mul_i32 s12, s2, s1
	s_add_i32 s13, s6, s9
	s_mov_b32 s1, exec_lo
	v_cmpx_gt_u64_e64 s[12:13], v[0:1]
	s_cbranch_execz .LBB20_14
; %bb.1:
	s_clause 0x2
	s_load_dword s14, s[4:5], 0x18
	s_load_dwordx4 s[8:11], s[4:5], 0x20
	s_load_dwordx2 s[16:17], s[4:5], 0x30
	s_mov_b32 s1, s7
	v_cvt_f32_u32_e32 v2, s2
	s_lshl_b64 s[0:1], s[0:1], 3
	v_cvt_f32_u32_e32 v3, s3
	v_cvt_f32_u32_e32 v4, s2
	v_fmamk_f32 v2, v3, 0x4f800000, v2
	v_rcp_iflag_f32_e32 v3, v4
	v_rcp_f32_e32 v2, v2
	s_waitcnt lgkmcnt(0)
	s_ashr_i32 s15, s14, 31
	s_add_u32 s0, s10, s0
	s_addc_u32 s1, s11, s1
	v_mul_f32_e32 v3, 0x4f7ffffe, v3
	s_load_dwordx2 s[18:19], s[0:1], 0x0
	s_clause 0x2
	s_load_dwordx2 s[10:11], s[4:5], 0x8
	s_load_dword s0, s[4:5], 0x48
	s_load_dword s20, s[4:5], 0x54
	s_lshl_b64 s[4:5], s[16:17], 3
	v_mul_f32_e32 v4, 0x5f7ffffc, v2
	v_cvt_u32_f32_e32 v5, v3
	v_mul_f32_e32 v6, 0x2f800000, v4
	v_trunc_f32_e32 v6, v6
	v_fmamk_f32 v8, v6, 0xcf800000, v4
	s_waitcnt lgkmcnt(0)
	s_add_u32 s1, s18, s4
	s_addc_u32 s6, s19, s5
	s_add_i32 s4, s11, -1
	s_add_i32 s17, s11, -2
	s_mul_hi_i32 s5, s4, s11
	s_mul_i32 s4, s4, s11
	s_ashr_i32 s16, s11, 31
	s_lshl_b64 s[18:19], s[4:5], 2
	v_cvt_f64_i32_e32 v[2:3], s17
	s_add_u32 s17, s18, -7
	s_addc_u32 s18, s19, -1
	s_sub_i32 s19, 0, s2
	v_mov_b32_e32 v4, 0
	v_mul_lo_u32 v7, s19, v5
	v_cvt_u32_f32_e32 v10, v8
	v_cvt_u32_f32_e32 v11, v6
	s_and_b32 s20, s20, 0xffff
	s_lshr_b64 s[4:5], s[4:5], 1
	s_mul_hi_u32 s19, s20, s0
	s_mul_i32 s20, s20, s0
	v_mul_hi_u32 v7, v5, v7
	v_add_nc_u32_e32 v12, v5, v7
	s_branch .LBB20_3
.LBB20_2:                               ;   in Loop: Header=BB20_3 Depth=1
	v_add_co_u32 v0, vcc_lo, v0, s20
	v_add_co_ci_u32_e64 v1, null, s19, v1, vcc_lo
	v_cmp_le_u64_e32 vcc_lo, s[12:13], v[0:1]
	s_or_b32 s7, vcc_lo, s7
	s_andn2_b32 exec_lo, exec_lo, s7
	s_cbranch_execz .LBB20_14
.LBB20_3:                               ; =>This Inner Loop Header: Depth=1
	v_or_b32_e32 v5, s3, v1
                                        ; implicit-def: $vgpr6_vgpr7
	s_mov_b32 s0, exec_lo
	v_cmpx_ne_u64_e32 0, v[4:5]
	s_xor_b32 s21, exec_lo, s0
	s_cbranch_execz .LBB20_5
; %bb.4:                                ;   in Loop: Header=BB20_3 Depth=1
	v_readfirstlane_b32 s0, v10
	v_readfirstlane_b32 s22, v11
	s_sub_u32 s23, 0, s2
	s_subb_u32 s24, 0, s3
	s_mul_hi_u32 s25, s23, s0
	s_mul_i32 s26, s23, s22
	s_mul_i32 s27, s24, s0
	s_add_i32 s25, s25, s26
	s_mul_i32 s26, s23, s0
	s_add_i32 s25, s25, s27
	s_mul_hi_u32 s27, s0, s26
	s_mul_i32 s28, s0, s25
	s_mul_hi_u32 s29, s0, s25
	s_add_u32 s27, s27, s28
	s_mul_i32 s30, s22, s26
	s_addc_u32 s28, 0, s29
	s_mul_hi_u32 s26, s22, s26
	s_mul_hi_u32 s29, s22, s25
	s_add_u32 s27, s27, s30
	s_addc_u32 s26, s28, s26
	s_mul_i32 s25, s22, s25
	s_addc_u32 s27, s29, 0
	s_add_u32 s25, s26, s25
	s_addc_u32 s26, 0, s27
	s_add_u32 s0, s0, s25
	s_cselect_b32 s25, -1, 0
	s_mul_i32 s24, s24, s0
	s_cmp_lg_u32 s25, 0
	s_addc_u32 s22, s22, s26
	s_mul_hi_u32 s26, s23, s0
	s_mul_i32 s25, s23, s22
	s_mul_i32 s23, s23, s0
	s_add_i32 s25, s26, s25
	s_mul_hi_u32 s26, s22, s23
	s_add_i32 s25, s25, s24
	s_mul_i32 s27, s22, s23
	s_mul_i32 s28, s0, s25
	s_mul_hi_u32 s23, s0, s23
	s_mul_hi_u32 s29, s0, s25
	s_add_u32 s23, s23, s28
	s_addc_u32 s28, 0, s29
	s_mul_hi_u32 s24, s22, s25
	s_add_u32 s23, s23, s27
	s_addc_u32 s23, s28, s26
	s_mul_i32 s25, s22, s25
	s_addc_u32 s24, s24, 0
	s_add_u32 s23, s23, s25
	s_addc_u32 s24, 0, s24
	s_add_u32 s0, s0, s23
	s_cselect_b32 s23, -1, 0
	v_mul_hi_u32 v9, v0, s0
	s_cmp_lg_u32 s23, 0
	v_mad_u64_u32 v[7:8], null, v1, s0, 0
	s_addc_u32 s22, s22, s24
	v_mad_u64_u32 v[5:6], null, v0, s22, 0
	v_add_co_u32 v9, vcc_lo, v9, v5
	v_add_co_ci_u32_e64 v13, null, 0, v6, vcc_lo
	v_mad_u64_u32 v[5:6], null, v1, s22, 0
	v_add_co_u32 v7, vcc_lo, v9, v7
	v_add_co_ci_u32_e32 v7, vcc_lo, v13, v8, vcc_lo
	v_add_co_ci_u32_e32 v6, vcc_lo, 0, v6, vcc_lo
	v_add_co_u32 v8, vcc_lo, v7, v5
	v_add_co_ci_u32_e64 v7, null, 0, v6, vcc_lo
	v_mul_lo_u32 v9, s3, v8
	v_mad_u64_u32 v[5:6], null, s2, v8, 0
	v_mul_lo_u32 v13, s2, v7
	v_sub_co_u32 v5, vcc_lo, v0, v5
	v_add3_u32 v6, v6, v13, v9
	v_add_co_u32 v13, s0, v8, 2
	v_add_co_ci_u32_e64 v14, null, 0, v7, s0
	v_sub_nc_u32_e32 v9, v1, v6
	v_sub_co_u32 v15, s0, v5, s2
	v_sub_co_ci_u32_e64 v6, null, v1, v6, vcc_lo
	v_subrev_co_ci_u32_e64 v9, null, s3, v9, vcc_lo
	v_cmp_le_u32_e32 vcc_lo, s2, v15
	v_subrev_co_ci_u32_e64 v9, null, 0, v9, s0
	v_cndmask_b32_e64 v15, 0, -1, vcc_lo
	v_cmp_eq_u32_e64 s0, s3, v6
	v_cmp_le_u32_e32 vcc_lo, s3, v9
	v_cndmask_b32_e64 v16, 0, -1, vcc_lo
	v_cmp_le_u32_e32 vcc_lo, s2, v5
	v_cndmask_b32_e64 v5, 0, -1, vcc_lo
	;; [unrolled: 2-line block ×3, first 2 shown]
	v_cmp_eq_u32_e32 vcc_lo, s3, v9
	v_cndmask_b32_e64 v5, v17, v5, s0
	v_cndmask_b32_e32 v9, v16, v15, vcc_lo
	v_add_co_u32 v15, vcc_lo, v8, 1
	v_add_co_ci_u32_e64 v16, null, 0, v7, vcc_lo
	v_cmp_ne_u32_e32 vcc_lo, 0, v9
	v_cndmask_b32_e32 v6, v16, v14, vcc_lo
	v_cndmask_b32_e32 v9, v15, v13, vcc_lo
	v_cmp_ne_u32_e32 vcc_lo, 0, v5
	v_cndmask_b32_e32 v7, v7, v6, vcc_lo
	v_cndmask_b32_e32 v6, v8, v9, vcc_lo
.LBB20_5:                               ;   in Loop: Header=BB20_3 Depth=1
	s_andn2_saveexec_b32 s0, s21
	s_cbranch_execz .LBB20_7
; %bb.6:                                ;   in Loop: Header=BB20_3 Depth=1
	v_mul_hi_u32 v5, v0, v12
	v_mul_lo_u32 v6, v5, s2
	v_add_nc_u32_e32 v7, 1, v5
	v_sub_nc_u32_e32 v6, v0, v6
	v_subrev_nc_u32_e32 v8, s2, v6
	v_cmp_le_u32_e32 vcc_lo, s2, v6
	v_cndmask_b32_e32 v6, v6, v8, vcc_lo
	v_cndmask_b32_e32 v5, v5, v7, vcc_lo
	v_cmp_le_u32_e32 vcc_lo, s2, v6
	v_add_nc_u32_e32 v7, 1, v5
	v_cndmask_b32_e32 v6, v5, v7, vcc_lo
	v_mov_b32_e32 v7, v4
.LBB20_7:                               ;   in Loop: Header=BB20_3 Depth=1
	s_or_b32 exec_lo, exec_lo, s0
	v_mul_lo_u32 v5, v7, s2
	v_mul_lo_u32 v13, v6, s3
	v_mad_u64_u32 v[8:9], null, v6, s2, 0
	s_cmpk_lt_i32 s10, 0x7a
	s_mov_b32 s0, -1
	v_add3_u32 v5, v9, v13, v5
	v_sub_co_u32 v8, vcc_lo, v0, v8
	v_sub_co_ci_u32_e64 v9, null, v1, v5, vcc_lo
	s_cbranch_scc1 .LBB20_11
; %bb.8:                                ;   in Loop: Header=BB20_3 Depth=1
	s_cmpk_eq_i32 s10, 0x7a
	s_cbranch_scc0 .LBB20_10
; %bb.9:                                ;   in Loop: Header=BB20_3 Depth=1
	v_lshlrev_b64 v[13:14], 3, v[8:9]
	v_sub_co_u32 v5, vcc_lo, s17, v13
	v_sub_co_ci_u32_e64 v13, null, s18, v14, vcc_lo
	v_cvt_f64_u32_e32 v[15:16], v5
	v_cvt_f64_u32_e32 v[13:14], v13
	v_ldexp_f64 v[13:14], v[13:14], 32
	v_add_f64 v[13:14], v[13:14], v[15:16]
	v_cmp_gt_f64_e32 vcc_lo, 0x10000000, v[13:14]
	v_cndmask_b32_e64 v5, 0, 0x100, vcc_lo
	v_ldexp_f64 v[13:14], v[13:14], v5
	v_cndmask_b32_e64 v5, 0, 0xffffff80, vcc_lo
	v_rsq_f64_e32 v[15:16], v[13:14]
	v_cmp_class_f64_e64 vcc_lo, v[13:14], 0x260
	v_mul_f64 v[17:18], v[13:14], v[15:16]
	v_mul_f64 v[15:16], v[15:16], 0.5
	v_fma_f64 v[19:20], -v[15:16], v[17:18], 0.5
	v_fma_f64 v[17:18], v[17:18], v[19:20], v[17:18]
	v_fma_f64 v[15:16], v[15:16], v[19:20], v[15:16]
	v_fma_f64 v[19:20], -v[17:18], v[17:18], v[13:14]
	v_fma_f64 v[17:18], v[19:20], v[15:16], v[17:18]
	v_fma_f64 v[19:20], -v[17:18], v[17:18], v[13:14]
	v_fma_f64 v[15:16], v[19:20], v[15:16], v[17:18]
	v_ldexp_f64 v[15:16], v[15:16], v5
	v_mul_lo_u32 v5, v7, s8
	v_cndmask_b32_e32 v14, v16, v14, vcc_lo
	v_cndmask_b32_e32 v13, v15, v13, vcc_lo
	v_fma_f64 v[13:14], v[13:14], 0.5, -0.5
	v_floor_f64_e32 v[13:14], v[13:14]
	v_add_f64 v[13:14], v[2:3], -v[13:14]
	v_trunc_f64_e32 v[13:14], v[13:14]
	v_ldexp_f64 v[15:16], v[13:14], 0xffffffe0
	v_floor_f64_e32 v[15:16], v[15:16]
	v_fma_f64 v[13:14], 0xc1f00000, v[15:16], v[13:14]
	v_cvt_u32_f64_e32 v15, v[15:16]
	v_mad_u64_u32 v[16:17], null, v6, s8, 0
	v_cvt_u32_f64_e32 v14, v[13:14]
	v_mul_lo_u32 v13, v6, s9
	v_add3_u32 v17, v17, v13, v5
	v_mul_lo_u32 v5, v15, s14
	v_lshlrev_b64 v[16:17], 3, v[16:17]
	v_sub_co_u32 v13, vcc_lo, s11, v14
	v_sub_co_ci_u32_e64 v22, null, s16, v15, vcc_lo
	v_mul_lo_u32 v23, v14, s15
	v_mad_u64_u32 v[18:19], null, v14, s14, 0
	v_add_co_u32 v24, vcc_lo, v13, -1
	v_add_co_ci_u32_e64 v25, null, -1, v22, vcc_lo
	v_sub_co_u32 v20, vcc_lo, v8, s4
	v_add3_u32 v19, v19, v23, v5
	v_mul_lo_u32 v5, v25, v13
	v_mul_lo_u32 v25, v24, v22
	v_mad_u64_u32 v[22:23], null, v24, v13, 0
	v_subrev_co_ci_u32_e64 v21, null, s5, v9, vcc_lo
	v_lshlrev_b64 v[18:19], 3, v[18:19]
	v_add_co_u32 v13, vcc_lo, s1, v16
	v_add_co_ci_u32_e64 v16, null, s6, v17, vcc_lo
	v_lshlrev_b64 v[20:21], 3, v[20:21]
	v_add3_u32 v23, v23, v25, v5
	v_add_co_u32 v5, vcc_lo, v13, v18
	v_add_co_ci_u32_e64 v18, null, v16, v19, vcc_lo
	v_lshlrev_b64 v[16:17], 2, v[22:23]
	v_lshlrev_b64 v[13:14], 3, v[14:15]
	v_add_co_u32 v5, vcc_lo, v5, v20
	v_add_co_ci_u32_e64 v15, null, v18, v21, vcc_lo
	v_and_b32_e32 v16, -8, v16
	v_add_co_u32 v5, vcc_lo, v5, v13
	v_add_co_ci_u32_e64 v14, null, v15, v14, vcc_lo
	v_add_co_u32 v13, vcc_lo, v5, v16
	v_add_co_ci_u32_e64 v14, null, v14, v17, vcc_lo
	v_mov_b32_e32 v5, v4
	flat_store_dwordx2 v[13:14], v[4:5] offset:8
.LBB20_10:                              ;   in Loop: Header=BB20_3 Depth=1
	s_mov_b32 s0, 0
.LBB20_11:                              ;   in Loop: Header=BB20_3 Depth=1
	s_andn2_b32 vcc_lo, exec_lo, s0
	s_cbranch_vccnz .LBB20_2
; %bb.12:                               ;   in Loop: Header=BB20_3 Depth=1
	s_cmpk_lg_i32 s10, 0x79
	s_cbranch_scc1 .LBB20_2
; %bb.13:                               ;   in Loop: Header=BB20_3 Depth=1
	v_lshlrev_b64 v[13:14], 3, v[8:9]
	v_mul_lo_u32 v7, v7, s8
	v_cvt_f64_u32_e32 v[14:15], v14
	v_or_b32_e32 v5, 1, v13
	v_cvt_f64_u32_e32 v[16:17], v5
	v_ldexp_f64 v[13:14], v[14:15], 32
	v_add_f64 v[13:14], v[13:14], v[16:17]
	v_cmp_gt_f64_e32 vcc_lo, 0x10000000, v[13:14]
	v_cndmask_b32_e64 v5, 0, 0x100, vcc_lo
	v_ldexp_f64 v[13:14], v[13:14], v5
	v_cndmask_b32_e64 v5, 0, 0xffffff80, vcc_lo
	v_rsq_f64_e32 v[15:16], v[13:14]
	v_cmp_class_f64_e64 vcc_lo, v[13:14], 0x260
	v_mul_f64 v[17:18], v[13:14], v[15:16]
	v_mul_f64 v[15:16], v[15:16], 0.5
	v_fma_f64 v[19:20], -v[15:16], v[17:18], 0.5
	v_fma_f64 v[17:18], v[17:18], v[19:20], v[17:18]
	v_fma_f64 v[15:16], v[15:16], v[19:20], v[15:16]
	v_fma_f64 v[19:20], -v[17:18], v[17:18], v[13:14]
	v_fma_f64 v[17:18], v[19:20], v[15:16], v[17:18]
	v_fma_f64 v[19:20], -v[17:18], v[17:18], v[13:14]
	v_fma_f64 v[15:16], v[19:20], v[15:16], v[17:18]
	v_mul_lo_u32 v18, v6, s9
	v_ldexp_f64 v[15:16], v[15:16], v5
	v_mad_u64_u32 v[5:6], null, v6, s8, 0
	v_add3_u32 v6, v6, v18, v7
	v_lshlrev_b64 v[5:6], 3, v[5:6]
	v_cndmask_b32_e32 v14, v16, v14, vcc_lo
	v_cndmask_b32_e32 v13, v15, v13, vcc_lo
	v_add_f64 v[13:14], v[13:14], -1.0
	v_mul_f64 v[13:14], v[13:14], 0.5
	v_trunc_f64_e32 v[13:14], v[13:14]
	v_ldexp_f64 v[15:16], v[13:14], 0xffffffe0
	v_floor_f64_e32 v[15:16], v[15:16]
	v_fma_f64 v[13:14], 0xc1f00000, v[15:16], v[13:14]
	v_cvt_u32_f64_e32 v15, v[15:16]
	v_cvt_u32_f64_e32 v14, v[13:14]
	v_mad_u64_u32 v[16:17], null, v14, v14, v[14:15]
	v_mul_lo_u32 v19, v14, v15
	v_mul_lo_u32 v15, s14, v15
	;; [unrolled: 1-line block ×3, first 2 shown]
	v_mad_u64_u32 v[13:14], null, s14, v14, s[14:15]
	v_add3_u32 v17, v19, v17, v19
	v_add3_u32 v14, v20, v14, v15
	v_lshrrev_b64 v[15:16], 1, v[16:17]
	v_lshlrev_b64 v[13:14], 3, v[13:14]
	v_sub_co_u32 v7, vcc_lo, v8, v15
	v_sub_co_ci_u32_e64 v8, null, v9, v16, vcc_lo
	v_add_co_u32 v9, vcc_lo, s1, v5
	v_add_co_ci_u32_e64 v15, null, s6, v6, vcc_lo
	v_lshlrev_b64 v[5:6], 3, v[7:8]
	v_add_co_u32 v7, vcc_lo, v9, v13
	v_add_co_ci_u32_e64 v8, null, v15, v14, vcc_lo
	v_add_co_u32 v7, vcc_lo, v7, v5
	v_add_co_ci_u32_e64 v8, null, v8, v6, vcc_lo
	v_mov_b32_e32 v5, v4
	flat_store_dwordx2 v[7:8], v[4:5]
	s_branch .LBB20_2
.LBB20_14:
	s_endpgm
	.section	.rodata,"a",@progbits
	.p2align	6, 0x0
	.amdhsa_kernel _ZL18rocblas_trtri_fillILi128EdPKPdEvP15_rocblas_handle13rocblas_fill_ililT1_llii
		.amdhsa_group_segment_fixed_size 0
		.amdhsa_private_segment_fixed_size 0
		.amdhsa_kernarg_size 328
		.amdhsa_user_sgpr_count 6
		.amdhsa_user_sgpr_private_segment_buffer 1
		.amdhsa_user_sgpr_dispatch_ptr 0
		.amdhsa_user_sgpr_queue_ptr 0
		.amdhsa_user_sgpr_kernarg_segment_ptr 1
		.amdhsa_user_sgpr_dispatch_id 0
		.amdhsa_user_sgpr_flat_scratch_init 0
		.amdhsa_user_sgpr_private_segment_size 0
		.amdhsa_wavefront_size32 1
		.amdhsa_uses_dynamic_stack 0
		.amdhsa_system_sgpr_private_segment_wavefront_offset 0
		.amdhsa_system_sgpr_workgroup_id_x 1
		.amdhsa_system_sgpr_workgroup_id_y 0
		.amdhsa_system_sgpr_workgroup_id_z 1
		.amdhsa_system_sgpr_workgroup_info 0
		.amdhsa_system_vgpr_workitem_id 0
		.amdhsa_next_free_vgpr 26
		.amdhsa_next_free_sgpr 31
		.amdhsa_reserve_vcc 1
		.amdhsa_reserve_flat_scratch 0
		.amdhsa_float_round_mode_32 0
		.amdhsa_float_round_mode_16_64 0
		.amdhsa_float_denorm_mode_32 3
		.amdhsa_float_denorm_mode_16_64 3
		.amdhsa_dx10_clamp 1
		.amdhsa_ieee_mode 1
		.amdhsa_fp16_overflow 0
		.amdhsa_workgroup_processor_mode 1
		.amdhsa_memory_ordered 1
		.amdhsa_forward_progress 1
		.amdhsa_shared_vgpr_count 0
		.amdhsa_exception_fp_ieee_invalid_op 0
		.amdhsa_exception_fp_denorm_src 0
		.amdhsa_exception_fp_ieee_div_zero 0
		.amdhsa_exception_fp_ieee_overflow 0
		.amdhsa_exception_fp_ieee_underflow 0
		.amdhsa_exception_fp_ieee_inexact 0
		.amdhsa_exception_int_div_zero 0
	.end_amdhsa_kernel
	.section	.text._ZL18rocblas_trtri_fillILi128EdPKPdEvP15_rocblas_handle13rocblas_fill_ililT1_llii,"axG",@progbits,_ZL18rocblas_trtri_fillILi128EdPKPdEvP15_rocblas_handle13rocblas_fill_ililT1_llii,comdat
.Lfunc_end20:
	.size	_ZL18rocblas_trtri_fillILi128EdPKPdEvP15_rocblas_handle13rocblas_fill_ililT1_llii, .Lfunc_end20-_ZL18rocblas_trtri_fillILi128EdPKPdEvP15_rocblas_handle13rocblas_fill_ililT1_llii
                                        ; -- End function
	.set _ZL18rocblas_trtri_fillILi128EdPKPdEvP15_rocblas_handle13rocblas_fill_ililT1_llii.num_vgpr, 26
	.set _ZL18rocblas_trtri_fillILi128EdPKPdEvP15_rocblas_handle13rocblas_fill_ililT1_llii.num_agpr, 0
	.set _ZL18rocblas_trtri_fillILi128EdPKPdEvP15_rocblas_handle13rocblas_fill_ililT1_llii.numbered_sgpr, 31
	.set _ZL18rocblas_trtri_fillILi128EdPKPdEvP15_rocblas_handle13rocblas_fill_ililT1_llii.num_named_barrier, 0
	.set _ZL18rocblas_trtri_fillILi128EdPKPdEvP15_rocblas_handle13rocblas_fill_ililT1_llii.private_seg_size, 0
	.set _ZL18rocblas_trtri_fillILi128EdPKPdEvP15_rocblas_handle13rocblas_fill_ililT1_llii.uses_vcc, 1
	.set _ZL18rocblas_trtri_fillILi128EdPKPdEvP15_rocblas_handle13rocblas_fill_ililT1_llii.uses_flat_scratch, 0
	.set _ZL18rocblas_trtri_fillILi128EdPKPdEvP15_rocblas_handle13rocblas_fill_ililT1_llii.has_dyn_sized_stack, 0
	.set _ZL18rocblas_trtri_fillILi128EdPKPdEvP15_rocblas_handle13rocblas_fill_ililT1_llii.has_recursion, 0
	.set _ZL18rocblas_trtri_fillILi128EdPKPdEvP15_rocblas_handle13rocblas_fill_ililT1_llii.has_indirect_call, 0
	.section	.AMDGPU.csdata,"",@progbits
; Kernel info:
; codeLenInByte = 2028
; TotalNumSgprs: 33
; NumVgprs: 26
; ScratchSize: 0
; MemoryBound: 0
; FloatMode: 240
; IeeeMode: 1
; LDSByteSize: 0 bytes/workgroup (compile time only)
; SGPRBlocks: 0
; VGPRBlocks: 3
; NumSGPRsForWavesPerEU: 33
; NumVGPRsForWavesPerEU: 26
; Occupancy: 16
; WaveLimiterHint : 1
; COMPUTE_PGM_RSRC2:SCRATCH_EN: 0
; COMPUTE_PGM_RSRC2:USER_SGPR: 6
; COMPUTE_PGM_RSRC2:TRAP_HANDLER: 0
; COMPUTE_PGM_RSRC2:TGID_X_EN: 1
; COMPUTE_PGM_RSRC2:TGID_Y_EN: 0
; COMPUTE_PGM_RSRC2:TGID_Z_EN: 1
; COMPUTE_PGM_RSRC2:TIDIG_COMP_CNT: 0
	.section	.text._ZL26rocblas_trtri_small_kernelILi16EdPKPKdPKPdEv13rocblas_fill_17rocblas_diagonal_iT1_lillT2_lilli,"axG",@progbits,_ZL26rocblas_trtri_small_kernelILi16EdPKPKdPKPdEv13rocblas_fill_17rocblas_diagonal_iT1_lillT2_lilli,comdat
	.globl	_ZL26rocblas_trtri_small_kernelILi16EdPKPKdPKPdEv13rocblas_fill_17rocblas_diagonal_iT1_lillT2_lilli ; -- Begin function _ZL26rocblas_trtri_small_kernelILi16EdPKPKdPKPdEv13rocblas_fill_17rocblas_diagonal_iT1_lillT2_lilli
	.p2align	8
	.type	_ZL26rocblas_trtri_small_kernelILi16EdPKPKdPKPdEv13rocblas_fill_17rocblas_diagonal_iT1_lillT2_lilli,@function
_ZL26rocblas_trtri_small_kernelILi16EdPKPKdPKPdEv13rocblas_fill_17rocblas_diagonal_iT1_lillT2_lilli: ; @_ZL26rocblas_trtri_small_kernelILi16EdPKPKdPKPdEv13rocblas_fill_17rocblas_diagonal_iT1_lillT2_lilli
; %bb.0:
	s_load_dwordx4 s[8:11], s[4:5], 0x0
	s_waitcnt lgkmcnt(0)
	s_cmp_lt_i32 s10, 1
	s_cbranch_scc1 .LBB21_36
; %bb.1:
	s_clause 0x1
	s_load_dwordx4 s[16:19], s[4:5], 0x30
	s_load_dwordx2 s[20:21], s[4:5], 0x40
	s_mov_b32 s0, s7
	s_mov_b32 s1, 0
	s_lshl_b64 s[2:3], s[0:1], 3
	s_waitcnt lgkmcnt(0)
	s_add_u32 s0, s18, s2
	s_addc_u32 s1, s19, s3
	s_load_dwordx2 s[18:19], s[0:1], 0x0
	v_cmp_le_u32_e64 s1, s10, v0
	v_cmp_gt_u32_e64 s0, s10, v0
	s_and_saveexec_b32 s7, s0
	s_cbranch_execz .LBB21_9
; %bb.2:
	s_clause 0x1
	s_load_dwordx4 s[12:15], s[4:5], 0x10
	s_load_dword s22, s[4:5], 0x20
	s_waitcnt lgkmcnt(0)
	s_add_u32 s2, s12, s2
	s_addc_u32 s3, s13, s3
	s_load_dwordx2 s[12:13], s[2:3], 0x0
	s_mul_i32 s2, s17, s6
	s_mul_hi_u32 s3, s16, s6
	s_mul_i32 s16, s16, s6
	s_add_i32 s17, s3, s2
	s_cmpk_lg_i32 s8, 0x7a
	s_mov_b32 s2, -1
	s_cbranch_scc0 .LBB21_6
; %bb.3:
	s_add_i32 s2, s10, -1
	s_ashr_i32 s23, s22, 31
	s_mul_hi_u32 s11, s22, s2
	s_mul_i32 s3, s23, s2
	v_sub_nc_u32_e32 v1, s2, v0
	s_add_i32 s3, s11, s3
	s_mul_i32 s2, s22, s2
	s_lshl_b64 s[24:25], s[16:17], 3
	s_lshl_b64 s[26:27], s[2:3], 3
	s_lshl_b32 s3, s10, 3
	s_add_u32 s2, s24, s26
	s_addc_u32 s11, s25, s27
	s_lshl_b64 s[24:25], s[14:15], 3
	v_lshlrev_b32_e32 v3, 3, v1
	v_lshlrev_b32_e32 v1, 3, v0
	s_add_u32 s2, s2, s24
	s_addc_u32 s11, s11, s25
	s_waitcnt lgkmcnt(0)
	s_add_u32 s2, s12, s2
	s_addc_u32 s11, s13, s11
	v_add_co_u32 v1, s2, s2, v1
	s_lshl_b64 s[24:25], s[22:23], 3
	v_add_co_ci_u32_e64 v2, null, s11, 0, s2
	s_sub_u32 s11, 0, s24
	s_subb_u32 s24, 0, s25
	s_mov_b32 s23, 0
	s_mov_b32 s25, s10
.LBB21_4:                               ; =>This Inner Loop Header: Depth=1
	flat_load_dwordx2 v[4:5], v[1:2]
	s_add_i32 s25, s25, -1
	v_add_co_u32 v1, vcc_lo, v1, s11
	v_cmp_le_u32_e64 s2, s25, v0
	v_add_co_ci_u32_e64 v2, null, s24, v2, vcc_lo
	s_or_b32 s23, s2, s23
	s_waitcnt vmcnt(0) lgkmcnt(0)
	ds_write_b64 v3, v[4:5]
	v_add_nc_u32_e32 v3, s3, v3
	s_andn2_b32 exec_lo, exec_lo, s23
	s_cbranch_execnz .LBB21_4
; %bb.5:
	s_or_b32 exec_lo, exec_lo, s23
	s_mov_b32 s2, 0
.LBB21_6:
	s_and_b32 vcc_lo, exec_lo, s2
	s_cbranch_vccz .LBB21_9
; %bb.7:
	s_lshl_b64 s[2:3], s[14:15], 3
	v_lshlrev_b32_e32 v3, 3, v0
	s_waitcnt lgkmcnt(0)
	s_add_u32 s11, s12, s2
	s_addc_u32 s12, s13, s3
	s_lshl_b64 s[2:3], s[16:17], 3
	v_add_nc_u32_e32 v4, 1, v0
	s_add_u32 s2, s11, s2
	s_addc_u32 s3, s12, s3
	v_add_co_u32 v1, s2, s2, v3
	v_add_co_ci_u32_e64 v2, null, s3, 0, s2
	s_ashr_i32 s23, s22, 31
	s_lshl_b32 s3, s10, 3
	s_lshl_b64 s[12:13], s[22:23], 3
	s_mov_b32 s11, 0
.LBB21_8:                               ; =>This Inner Loop Header: Depth=1
	flat_load_dwordx2 v[5:6], v[1:2]
	v_add_nc_u32_e32 v4, -1, v4
	v_add_co_u32 v1, vcc_lo, v1, s12
	v_add_co_ci_u32_e64 v2, null, s13, v2, vcc_lo
	v_cmp_eq_u32_e64 s2, 0, v4
	s_or_b32 s11, s2, s11
	s_waitcnt vmcnt(0) lgkmcnt(0)
	ds_write_b64 v3, v[5:6]
	v_add_nc_u32_e32 v3, s3, v3
	s_andn2_b32 exec_lo, exec_lo, s11
	s_cbranch_execnz .LBB21_8
.LBB21_9:
	s_or_b32 exec_lo, exec_lo, s7
	s_waitcnt lgkmcnt(0)
	; wave barrier
	buffer_gl0_inv
                                        ; implicit-def: $vgpr1
	s_and_saveexec_b32 s2, s1
	s_xor_b32 s1, exec_lo, s2
; %bb.10:
	v_mad_u64_u32 v[1:2], null, v0, s10, v[0:1]
; %bb.11:
	s_andn2_saveexec_b32 s1, s1
	s_cbranch_execz .LBB21_17
; %bb.12:
	v_mad_u64_u32 v[1:2], null, v0, s10, v[0:1]
	v_mov_b32_e32 v2, 0
	v_mov_b32_e32 v3, 0x3ff00000
	s_cmpk_eq_i32 s9, 0x84
	v_lshlrev_b32_e32 v6, 3, v1
	s_cbranch_scc1 .LBB21_16
; %bb.13:
	ds_read_b64 v[4:5], v6
	v_mov_b32_e32 v2, 0
	v_mov_b32_e32 v3, 0x3ff00000
	s_mov_b32 s2, exec_lo
	s_waitcnt lgkmcnt(0)
	v_cmpx_neq_f64_e32 0, v[4:5]
	s_cbranch_execz .LBB21_15
; %bb.14:
	v_div_scale_f64 v[2:3], null, v[4:5], v[4:5], 1.0
	v_rcp_f64_e32 v[7:8], v[2:3]
	v_fma_f64 v[9:10], -v[2:3], v[7:8], 1.0
	v_fma_f64 v[7:8], v[7:8], v[9:10], v[7:8]
	v_fma_f64 v[9:10], -v[2:3], v[7:8], 1.0
	v_fma_f64 v[7:8], v[7:8], v[9:10], v[7:8]
	v_div_scale_f64 v[9:10], vcc_lo, 1.0, v[4:5], 1.0
	v_mul_f64 v[11:12], v[9:10], v[7:8]
	v_fma_f64 v[2:3], -v[2:3], v[11:12], v[9:10]
	v_div_fmas_f64 v[2:3], v[2:3], v[7:8], v[11:12]
	v_div_fixup_f64 v[2:3], v[2:3], v[4:5], 1.0
.LBB21_15:
	s_or_b32 exec_lo, exec_lo, s2
.LBB21_16:
	ds_write_b64 v6, v[2:3]
.LBB21_17:
	s_or_b32 exec_lo, exec_lo, s1
	v_lshlrev_b32_e32 v3, 3, v0
	s_lshl_b32 s1, s10, 3
	v_lshlrev_b32_e32 v4, 3, v1
	s_mov_b32 s2, 8
	s_add_i32 s3, s1, 8
	v_add_nc_u32_e32 v5, s1, v3
	s_mov_b32 s7, 0
	s_waitcnt lgkmcnt(0)
	; wave barrier
	buffer_gl0_inv
	s_branch .LBB21_19
.LBB21_18:                              ;   in Loop: Header=BB21_19 Depth=1
	s_inst_prefetch 0x2
	v_add_nc_u32_e32 v5, s1, v5
	s_add_i32 s2, s2, s3
	s_cmp_eq_u32 s7, s10
	; wave barrier
	buffer_gl0_inv
	s_cbranch_scc1 .LBB21_28
.LBB21_19:                              ; =>This Loop Header: Depth=1
                                        ;     Child Loop BB21_24 Depth 2
	v_mov_b32_e32 v1, 0
	v_mov_b32_e32 v2, 0
	s_mul_i32 s9, s7, s10
	s_mov_b32 s11, exec_lo
	v_cmpx_lt_u32_e64 s7, v0
	s_cbranch_execz .LBB21_21
; %bb.20:                               ;   in Loop: Header=BB21_19 Depth=1
	s_lshl_b32 s12, s7, 3
	s_lshl_b32 s13, s9, 3
	s_add_i32 s12, s12, s13
	v_add_nc_u32_e32 v1, s13, v3
	v_mov_b32_e32 v6, s12
	ds_read_b64 v[1:2], v1
	ds_read_b64 v[6:7], v6
	s_waitcnt lgkmcnt(0)
	v_fma_f64 v[1:2], v[1:2], v[6:7], 0
.LBB21_21:                              ;   in Loop: Header=BB21_19 Depth=1
	s_or_b32 exec_lo, exec_lo, s11
	s_add_i32 s7, s7, 1
	s_cmp_ge_i32 s7, s10
	; wave barrier
	buffer_gl0_inv
	s_cbranch_scc1 .LBB21_18
; %bb.22:                               ;   in Loop: Header=BB21_19 Depth=1
	v_lshl_add_u32 v6, s9, 3, v3
	v_mov_b32_e32 v7, v5
	s_mov_b32 s9, s2
	s_mov_b32 s11, s7
	s_inst_prefetch 0x1
	s_branch .LBB21_24
	.p2align	6
.LBB21_23:                              ;   in Loop: Header=BB21_24 Depth=2
	s_or_b32 exec_lo, exec_lo, s12
	v_add_nc_u32_e32 v7, s1, v7
	s_add_i32 s11, s11, 1
	s_add_i32 s9, s9, 8
	s_cmp_eq_u32 s10, s11
	; wave barrier
	buffer_gl0_inv
	s_cbranch_scc1 .LBB21_18
.LBB21_24:                              ;   Parent Loop BB21_19 Depth=1
                                        ; =>  This Inner Loop Header: Depth=2
	s_mov_b32 s12, exec_lo
	v_cmpx_eq_u32_e64 s11, v0
	s_cbranch_execz .LBB21_26
; %bb.25:                               ;   in Loop: Header=BB21_24 Depth=2
	v_add_f64 v[8:9], -v[1:2], 0
	ds_read_b64 v[10:11], v4
	s_waitcnt lgkmcnt(0)
	v_mul_f64 v[8:9], v[8:9], v[10:11]
	ds_write_b64 v6, v[8:9]
.LBB21_26:                              ;   in Loop: Header=BB21_24 Depth=2
	s_or_b32 exec_lo, exec_lo, s12
	s_mov_b32 s12, exec_lo
	s_waitcnt lgkmcnt(0)
	; wave barrier
	buffer_gl0_inv
	v_cmpx_lt_u32_e64 s11, v0
	s_cbranch_execz .LBB21_23
; %bb.27:                               ;   in Loop: Header=BB21_24 Depth=2
	v_mov_b32_e32 v10, s9
	ds_read_b64 v[8:9], v7
	ds_read_b64 v[10:11], v10
	s_waitcnt lgkmcnt(0)
	v_fma_f64 v[1:2], v[8:9], v[10:11], v[1:2]
	s_branch .LBB21_23
.LBB21_28:
	s_and_saveexec_b32 s2, s0
	s_cbranch_execz .LBB21_36
; %bb.29:
	s_clause 0x1
	s_load_dwordx2 s[12:13], s[4:5], 0x58
	s_load_dword s2, s[4:5], 0x48
	s_waitcnt lgkmcnt(0)
	s_mul_i32 s0, s13, s6
	s_mul_hi_u32 s3, s12, s6
	s_mul_i32 s4, s12, s6
	s_add_i32 s5, s3, s0
	s_cmpk_lg_i32 s8, 0x7a
	s_mov_b32 s0, -1
	s_cbranch_scc0 .LBB21_33
; %bb.30:
	s_add_i32 s0, s10, -1
	s_ashr_i32 s3, s2, 31
	s_mul_hi_u32 s7, s2, s0
	s_mul_i32 s6, s3, s0
	v_sub_nc_u32_e32 v1, s0, v0
	s_add_i32 s7, s7, s6
	s_mul_i32 s6, s2, s0
	s_lshl_b64 s[8:9], s[4:5], 3
	s_lshl_b64 s[6:7], s[6:7], 3
	v_lshlrev_b32_e32 v4, 3, v1
	s_add_u32 s0, s8, s6
	s_addc_u32 s8, s9, s7
	s_lshl_b64 s[6:7], s[20:21], 3
	v_lshlrev_b32_e32 v1, 3, v0
	s_add_u32 s0, s0, s6
	s_addc_u32 s6, s8, s7
	s_add_u32 s0, s18, s0
	s_addc_u32 s8, s19, s6
	v_add_co_u32 v1, s0, s0, v1
	s_lshl_b64 s[6:7], s[2:3], 3
	v_add_co_ci_u32_e64 v2, null, s8, 0, s0
	s_sub_u32 s3, 0, s6
	s_subb_u32 s7, 0, s7
	s_mov_b32 s6, 0
.LBB21_31:                              ; =>This Inner Loop Header: Depth=1
	ds_read_b64 v[5:6], v4
	s_add_i32 s10, s10, -1
	v_add_nc_u32_e32 v4, s1, v4
	v_cmp_le_u32_e32 vcc_lo, s10, v0
	s_or_b32 s6, vcc_lo, s6
	s_waitcnt lgkmcnt(0)
	flat_store_dwordx2 v[1:2], v[5:6]
	v_add_co_u32 v1, s0, v1, s3
	v_add_co_ci_u32_e64 v2, null, s7, v2, s0
	s_andn2_b32 exec_lo, exec_lo, s6
	s_cbranch_execnz .LBB21_31
; %bb.32:
	s_or_b32 exec_lo, exec_lo, s6
	s_mov_b32 s0, 0
.LBB21_33:
	s_and_b32 vcc_lo, exec_lo, s0
	s_cbranch_vccz .LBB21_36
; %bb.34:
	s_lshl_b64 s[6:7], s[20:21], 3
	v_lshlrev_b32_e32 v1, 3, v0
	s_add_u32 s0, s18, s6
	s_addc_u32 s3, s19, s7
	s_lshl_b64 s[4:5], s[4:5], 3
	v_add_nc_u32_e32 v0, 1, v0
	s_add_u32 s0, s0, s4
	s_addc_u32 s4, s3, s5
	v_add_co_u32 v1, s0, s0, v1
	v_add_co_ci_u32_e64 v2, null, s4, 0, s0
	s_ashr_i32 s3, s2, 31
	s_mov_b32 s4, 0
	s_lshl_b64 s[2:3], s[2:3], 3
.LBB21_35:                              ; =>This Inner Loop Header: Depth=1
	ds_read_b64 v[4:5], v3
	v_add_nc_u32_e32 v0, -1, v0
	v_add_nc_u32_e32 v3, s1, v3
	v_cmp_eq_u32_e32 vcc_lo, 0, v0
	s_or_b32 s4, vcc_lo, s4
	s_waitcnt lgkmcnt(0)
	flat_store_dwordx2 v[1:2], v[4:5]
	v_add_co_u32 v1, s0, v1, s2
	v_add_co_ci_u32_e64 v2, null, s3, v2, s0
	s_andn2_b32 exec_lo, exec_lo, s4
	s_cbranch_execnz .LBB21_35
.LBB21_36:
	s_endpgm
	.section	.rodata,"a",@progbits
	.p2align	6, 0x0
	.amdhsa_kernel _ZL26rocblas_trtri_small_kernelILi16EdPKPKdPKPdEv13rocblas_fill_17rocblas_diagonal_iT1_lillT2_lilli
		.amdhsa_group_segment_fixed_size 2048
		.amdhsa_private_segment_fixed_size 0
		.amdhsa_kernarg_size 100
		.amdhsa_user_sgpr_count 6
		.amdhsa_user_sgpr_private_segment_buffer 1
		.amdhsa_user_sgpr_dispatch_ptr 0
		.amdhsa_user_sgpr_queue_ptr 0
		.amdhsa_user_sgpr_kernarg_segment_ptr 1
		.amdhsa_user_sgpr_dispatch_id 0
		.amdhsa_user_sgpr_flat_scratch_init 0
		.amdhsa_user_sgpr_private_segment_size 0
		.amdhsa_wavefront_size32 1
		.amdhsa_uses_dynamic_stack 0
		.amdhsa_system_sgpr_private_segment_wavefront_offset 0
		.amdhsa_system_sgpr_workgroup_id_x 1
		.amdhsa_system_sgpr_workgroup_id_y 0
		.amdhsa_system_sgpr_workgroup_id_z 1
		.amdhsa_system_sgpr_workgroup_info 0
		.amdhsa_system_vgpr_workitem_id 0
		.amdhsa_next_free_vgpr 13
		.amdhsa_next_free_sgpr 28
		.amdhsa_reserve_vcc 1
		.amdhsa_reserve_flat_scratch 0
		.amdhsa_float_round_mode_32 0
		.amdhsa_float_round_mode_16_64 0
		.amdhsa_float_denorm_mode_32 3
		.amdhsa_float_denorm_mode_16_64 3
		.amdhsa_dx10_clamp 1
		.amdhsa_ieee_mode 1
		.amdhsa_fp16_overflow 0
		.amdhsa_workgroup_processor_mode 1
		.amdhsa_memory_ordered 1
		.amdhsa_forward_progress 1
		.amdhsa_shared_vgpr_count 0
		.amdhsa_exception_fp_ieee_invalid_op 0
		.amdhsa_exception_fp_denorm_src 0
		.amdhsa_exception_fp_ieee_div_zero 0
		.amdhsa_exception_fp_ieee_overflow 0
		.amdhsa_exception_fp_ieee_underflow 0
		.amdhsa_exception_fp_ieee_inexact 0
		.amdhsa_exception_int_div_zero 0
	.end_amdhsa_kernel
	.section	.text._ZL26rocblas_trtri_small_kernelILi16EdPKPKdPKPdEv13rocblas_fill_17rocblas_diagonal_iT1_lillT2_lilli,"axG",@progbits,_ZL26rocblas_trtri_small_kernelILi16EdPKPKdPKPdEv13rocblas_fill_17rocblas_diagonal_iT1_lillT2_lilli,comdat
.Lfunc_end21:
	.size	_ZL26rocblas_trtri_small_kernelILi16EdPKPKdPKPdEv13rocblas_fill_17rocblas_diagonal_iT1_lillT2_lilli, .Lfunc_end21-_ZL26rocblas_trtri_small_kernelILi16EdPKPKdPKPdEv13rocblas_fill_17rocblas_diagonal_iT1_lillT2_lilli
                                        ; -- End function
	.set _ZL26rocblas_trtri_small_kernelILi16EdPKPKdPKPdEv13rocblas_fill_17rocblas_diagonal_iT1_lillT2_lilli.num_vgpr, 13
	.set _ZL26rocblas_trtri_small_kernelILi16EdPKPKdPKPdEv13rocblas_fill_17rocblas_diagonal_iT1_lillT2_lilli.num_agpr, 0
	.set _ZL26rocblas_trtri_small_kernelILi16EdPKPKdPKPdEv13rocblas_fill_17rocblas_diagonal_iT1_lillT2_lilli.numbered_sgpr, 28
	.set _ZL26rocblas_trtri_small_kernelILi16EdPKPKdPKPdEv13rocblas_fill_17rocblas_diagonal_iT1_lillT2_lilli.num_named_barrier, 0
	.set _ZL26rocblas_trtri_small_kernelILi16EdPKPKdPKPdEv13rocblas_fill_17rocblas_diagonal_iT1_lillT2_lilli.private_seg_size, 0
	.set _ZL26rocblas_trtri_small_kernelILi16EdPKPKdPKPdEv13rocblas_fill_17rocblas_diagonal_iT1_lillT2_lilli.uses_vcc, 1
	.set _ZL26rocblas_trtri_small_kernelILi16EdPKPKdPKPdEv13rocblas_fill_17rocblas_diagonal_iT1_lillT2_lilli.uses_flat_scratch, 0
	.set _ZL26rocblas_trtri_small_kernelILi16EdPKPKdPKPdEv13rocblas_fill_17rocblas_diagonal_iT1_lillT2_lilli.has_dyn_sized_stack, 0
	.set _ZL26rocblas_trtri_small_kernelILi16EdPKPKdPKPdEv13rocblas_fill_17rocblas_diagonal_iT1_lillT2_lilli.has_recursion, 0
	.set _ZL26rocblas_trtri_small_kernelILi16EdPKPKdPKPdEv13rocblas_fill_17rocblas_diagonal_iT1_lillT2_lilli.has_indirect_call, 0
	.section	.AMDGPU.csdata,"",@progbits
; Kernel info:
; codeLenInByte = 1476
; TotalNumSgprs: 30
; NumVgprs: 13
; ScratchSize: 0
; MemoryBound: 0
; FloatMode: 240
; IeeeMode: 1
; LDSByteSize: 2048 bytes/workgroup (compile time only)
; SGPRBlocks: 0
; VGPRBlocks: 1
; NumSGPRsForWavesPerEU: 30
; NumVGPRsForWavesPerEU: 13
; Occupancy: 16
; WaveLimiterHint : 0
; COMPUTE_PGM_RSRC2:SCRATCH_EN: 0
; COMPUTE_PGM_RSRC2:USER_SGPR: 6
; COMPUTE_PGM_RSRC2:TRAP_HANDLER: 0
; COMPUTE_PGM_RSRC2:TGID_X_EN: 1
; COMPUTE_PGM_RSRC2:TGID_Y_EN: 0
; COMPUTE_PGM_RSRC2:TGID_Z_EN: 1
; COMPUTE_PGM_RSRC2:TIDIG_COMP_CNT: 0
	.section	.text._ZL29rocblas_trtri_diagonal_kernelILi16EdPKPKdPKPdEv13rocblas_fill_17rocblas_diagonal_iT1_lillT2_lilli,"axG",@progbits,_ZL29rocblas_trtri_diagonal_kernelILi16EdPKPKdPKPdEv13rocblas_fill_17rocblas_diagonal_iT1_lillT2_lilli,comdat
	.globl	_ZL29rocblas_trtri_diagonal_kernelILi16EdPKPKdPKPdEv13rocblas_fill_17rocblas_diagonal_iT1_lillT2_lilli ; -- Begin function _ZL29rocblas_trtri_diagonal_kernelILi16EdPKPKdPKPdEv13rocblas_fill_17rocblas_diagonal_iT1_lillT2_lilli
	.p2align	8
	.type	_ZL29rocblas_trtri_diagonal_kernelILi16EdPKPKdPKPdEv13rocblas_fill_17rocblas_diagonal_iT1_lillT2_lilli,@function
_ZL29rocblas_trtri_diagonal_kernelILi16EdPKPKdPKPdEv13rocblas_fill_17rocblas_diagonal_iT1_lillT2_lilli: ; @_ZL29rocblas_trtri_diagonal_kernelILi16EdPKPKdPKPdEv13rocblas_fill_17rocblas_diagonal_iT1_lillT2_lilli
; %bb.0:
	s_load_dwordx4 s[8:11], s[4:5], 0x0
	s_mov_b32 s0, s7
	s_waitcnt lgkmcnt(0)
	s_ashr_i32 s1, s10, 31
	s_lshr_b32 s1, s1, 27
	s_add_i32 s1, s10, s1
	s_ashr_i32 s1, s1, 5
	v_cvt_f32_u32_e32 v1, s1
	s_sub_i32 s3, 0, s1
	v_rcp_iflag_f32_e32 v1, v1
	v_mul_f32_e32 v1, 0x4f7ffffe, v1
	v_cvt_u32_f32_e32 v1, v1
	v_readfirstlane_b32 s2, v1
	s_mul_i32 s3, s3, s2
	s_mul_hi_u32 s3, s2, s3
	s_add_i32 s2, s2, s3
	s_mul_hi_u32 s2, s6, s2
	s_mul_i32 s3, s2, s1
	s_add_i32 s7, s2, 1
	s_sub_i32 s3, s6, s3
	s_sub_i32 s11, s3, s1
	s_cmp_ge_u32 s3, s1
	s_cselect_b32 s2, s7, s2
	s_cselect_b32 s3, s11, s3
	s_add_i32 s7, s2, 1
	s_cmp_ge_u32 s3, s1
	s_cselect_b32 s24, s7, s2
	s_mul_i32 s1, s24, s1
	s_sub_i32 s25, s6, s1
	s_mov_b32 s1, 0
	s_lshl_b32 s2, s25, 4
	s_cmp_eq_u32 s10, s2
	s_cbranch_scc1 .LBB22_89
; %bb.1:
	s_clause 0x1
	s_load_dwordx4 s[12:15], s[4:5], 0x10
	s_load_dwordx4 s[16:19], s[4:5], 0x30
	s_lshl_b64 s[0:1], s[0:1], 3
	s_load_dwordx2 s[20:21], s[4:5], 0x40
	v_mov_b32_e32 v1, v0
	s_waitcnt lgkmcnt(0)
	s_add_u32 s6, s12, s0
	s_addc_u32 s7, s13, s1
	s_add_u32 s0, s18, s0
	s_addc_u32 s1, s19, s1
	s_load_dwordx2 s[12:13], s[6:7], 0x0
	s_load_dwordx2 s[6:7], s[0:1], 0x0
	s_sub_i32 s23, s10, s2
	s_min_u32 s22, s23, 16
	s_lshl_b32 s10, s22, 1
	v_cmp_gt_u32_e64 s2, s22, v0
	v_cmp_le_u32_e64 s0, s22, v0
	v_cmp_gt_u32_e64 s1, s10, v0
	v_cmp_le_u32_e32 vcc_lo, s10, v0
	s_and_saveexec_b32 s3, s0
	s_cbranch_execz .LBB22_7
; %bb.2:
                                        ; implicit-def: $vgpr1
	s_and_saveexec_b32 s11, vcc_lo
	s_xor_b32 s11, exec_lo, s11
; %bb.3:
	v_subrev_nc_u32_e32 v1, s10, v0
; %bb.4:
	s_andn2_saveexec_b32 s10, s11
; %bb.5:
	v_subrev_nc_u32_e32 v1, s22, v0
; %bb.6:
	s_or_b32 exec_lo, exec_lo, s10
.LBB22_7:
	s_or_b32 exec_lo, exec_lo, s3
	s_load_dword s10, s[4:5], 0x20
	v_cndmask_b32_e64 v2, 0, 0x1800, s1
	s_mul_i32 s3, s17, s24
	s_mul_hi_u32 s17, s16, s24
	v_cndmask_b32_e64 v9, v2, 0x1000, s2
	s_waitcnt lgkmcnt(0)
	s_ashr_i32 s11, s10, 31
	s_lshl_b64 s[18:19], s[10:11], 5
	s_add_u32 s2, s18, 32
	s_addc_u32 s18, s19, 0
	s_add_i32 s3, s17, s3
	s_mul_hi_u32 s17, s2, s25
	s_mul_i32 s19, s18, s25
	s_mul_i32 s18, s2, s25
	s_add_i32 s19, s17, s19
	s_mul_i32 s2, s16, s24
	s_and_saveexec_b32 s16, vcc_lo
	s_xor_b32 s26, exec_lo, s16
	s_cbranch_execz .LBB22_17
; %bb.8:
	s_mul_i32 s16, s22, 3
	s_mov_b32 s27, exec_lo
	v_cmpx_gt_u32_e64 s16, v0
	s_cbranch_execz .LBB22_16
; %bb.9:
	s_cmpk_eq_i32 s8, 0x7a
	s_mov_b32 s16, -1
	s_cbranch_scc1 .LBB22_13
; %bb.10:
	s_add_i32 s28, s22, -1
	s_lshl_b32 s36, s22, 3
	s_mul_i32 s17, s22, s28
	s_lshl_b64 s[30:31], s[2:3], 3
	s_lshl_b64 s[34:35], s[18:19], 3
	s_add_i32 s16, s22, 1
	s_lshl_b32 s33, s17, 3
	s_mov_b32 s29, 0
	s_sub_i32 s17, 0, s36
	v_lshlrev_b32_e32 v3, 3, v1
	s_add_u32 s30, s30, s34
	s_addc_u32 s31, s31, s35
	s_lshl_b64 s[28:29], s[28:29], 3
	v_ashrrev_i32_e32 v2, 31, v1
	s_add_u32 s28, s36, s28
	v_add3_u32 v4, s33, v3, v9
	s_mul_i32 s33, s28, s11
	s_mul_hi_u32 s34, s28, s10
	s_addc_u32 s29, 0, s29
	s_add_i32 s33, s34, s33
	s_mul_i32 s29, s29, s10
	s_mul_i32 s28, s28, s10
	s_add_i32 s33, s33, s29
	s_add_u32 s30, s30, s28
	s_addc_u32 s31, s31, s33
	s_lshl_b64 s[28:29], s[14:15], 3
	v_lshlrev_b64 v[2:3], 3, v[1:2]
	s_add_u32 s28, s30, s28
	s_addc_u32 s29, s31, s29
	s_add_u32 s28, s12, s28
	s_addc_u32 s29, s13, s29
	v_add_co_u32 v2, vcc_lo, s28, v2
	v_add_co_ci_u32_e64 v3, null, s29, v3, vcc_lo
	s_lshl_b64 s[28:29], s[10:11], 3
	s_sub_u32 s28, 0, s28
	s_subb_u32 s29, 0, s29
.LBB22_11:                              ; =>This Inner Loop Header: Depth=1
	flat_load_dwordx2 v[5:6], v[2:3]
	v_add_co_u32 v2, vcc_lo, v2, s28
	v_add_co_ci_u32_e64 v3, null, s29, v3, vcc_lo
	s_add_i32 s16, s16, -1
	s_cmp_gt_u32 s16, 1
	s_waitcnt vmcnt(0) lgkmcnt(0)
	ds_write_b64 v4, v[5:6]
	v_add_nc_u32_e32 v4, s17, v4
	s_cbranch_scc1 .LBB22_11
; %bb.12:
	s_mov_b32 s16, 0
.LBB22_13:
	s_and_b32 vcc_lo, exec_lo, s16
	s_cbranch_vccz .LBB22_16
; %bb.14:
	v_add_nc_u32_e32 v2, s22, v1
	s_lshl_b64 s[16:17], s[14:15], 3
	v_lshl_add_u32 v4, v1, 3, v9
	s_add_u32 s28, s12, s16
	s_addc_u32 s29, s13, s17
	v_ashrrev_i32_e32 v3, 31, v2
	s_lshl_b64 s[16:17], s[18:19], 3
	s_add_u32 s28, s28, s16
	s_addc_u32 s29, s29, s17
	v_lshlrev_b64 v[2:3], 3, v[2:3]
	s_lshl_b64 s[16:17], s[2:3], 3
	s_add_u32 s16, s28, s16
	s_addc_u32 s17, s29, s17
	s_lshl_b32 s28, s22, 3
	v_add_co_u32 v2, vcc_lo, s16, v2
	v_add_co_ci_u32_e64 v3, null, s17, v3, vcc_lo
	s_lshl_b64 s[16:17], s[10:11], 3
	s_mov_b32 s29, s22
.LBB22_15:                              ; =>This Inner Loop Header: Depth=1
	flat_load_dwordx2 v[5:6], v[2:3]
	v_add_co_u32 v2, vcc_lo, v2, s16
	v_add_co_ci_u32_e64 v3, null, s17, v3, vcc_lo
	s_add_i32 s29, s29, -1
	s_cmp_eq_u32 s29, 0
	s_waitcnt vmcnt(0) lgkmcnt(0)
	ds_write_b64 v4, v[5:6]
	v_add_nc_u32_e32 v4, s28, v4
	s_cbranch_scc0 .LBB22_15
.LBB22_16:
	s_or_b32 exec_lo, exec_lo, s27
.LBB22_17:
	s_andn2_saveexec_b32 s16, s26
	s_cbranch_execz .LBB22_31
; %bb.18:
	v_mov_b32_e32 v2, 0
	v_mov_b32_e32 v3, 0
	s_and_saveexec_b32 s17, s0
; %bb.19:
	s_add_u32 s26, s10, 1
	s_addc_u32 s27, s11, 0
	s_mul_hi_u32 s28, s26, s22
	s_mul_i32 s27, s27, s22
	s_mul_i32 s26, s26, s22
	s_add_i32 s27, s28, s27
	v_mov_b32_e32 v2, s26
	v_mov_b32_e32 v3, s27
; %bb.20:
	s_or_b32 exec_lo, exec_lo, s17
	v_lshlrev_b64 v[3:4], 3, v[2:3]
	s_cmpk_lg_i32 s8, 0x7a
	s_mov_b32 s17, -1
	s_cbranch_scc0 .LBB22_26
; %bb.21:
	s_lshl_b64 s[26:27], s[2:3], 3
	s_lshl_b64 s[28:29], s[18:19], 3
	s_add_i32 s17, s22, -1
	s_add_u32 s28, s26, s28
	s_mul_i32 s26, s11, s17
	s_mul_hi_u32 s30, s10, s17
	s_addc_u32 s29, s27, s29
	s_add_i32 s27, s30, s26
	s_mul_i32 s26, s10, s17
	v_ashrrev_i32_e32 v2, 31, v1
	s_lshl_b64 s[26:27], s[26:27], 3
	v_sub_nc_u32_e32 v7, s17, v1
	s_add_u32 s28, s28, s26
	s_addc_u32 s29, s29, s27
	s_lshl_b64 s[26:27], s[14:15], 3
	v_lshlrev_b64 v[5:6], 3, v[1:2]
	s_add_u32 s17, s26, s28
	s_addc_u32 s26, s27, s29
	v_add_co_u32 v8, vcc_lo, s17, v3
	v_add_co_ci_u32_e64 v10, null, s26, v4, vcc_lo
	v_lshl_add_u32 v2, v7, 3, v9
	v_add_co_u32 v5, vcc_lo, v8, v5
	v_add_co_ci_u32_e64 v6, null, v10, v6, vcc_lo
	s_lshl_b64 s[26:27], s[10:11], 3
	v_add_co_u32 v5, vcc_lo, s12, v5
	v_add_co_ci_u32_e64 v6, null, s13, v6, vcc_lo
	s_sub_u32 s17, 0, s26
	s_subb_u32 s26, 0, s27
	s_lshl_b32 s27, s22, 3
	s_mov_b32 s28, s22
	s_branch .LBB22_23
	.p2align	6
.LBB22_22:                              ;   in Loop: Header=BB22_23 Depth=1
	s_or_b32 exec_lo, exec_lo, s29
	v_add_co_u32 v5, vcc_lo, v5, s17
	s_waitcnt vmcnt(0) lgkmcnt(0)
	ds_write_b64 v2, v[7:8]
	v_add_co_ci_u32_e64 v6, null, s26, v6, vcc_lo
	v_add_nc_u32_e32 v2, s27, v2
	s_cmp_lt_i32 s28, 1
	s_cbranch_scc1 .LBB22_25
.LBB22_23:                              ; =>This Inner Loop Header: Depth=1
	v_mov_b32_e32 v7, 0
	v_mov_b32_e32 v8, 0
	s_add_i32 s28, s28, -1
	s_mov_b32 s29, exec_lo
	v_cmpx_ge_i32_e64 s28, v1
	s_cbranch_execz .LBB22_22
; %bb.24:                               ;   in Loop: Header=BB22_23 Depth=1
	flat_load_dwordx2 v[7:8], v[5:6]
	s_branch .LBB22_22
.LBB22_25:
	s_mov_b32 s17, 0
.LBB22_26:
	s_and_b32 vcc_lo, exec_lo, s17
	s_cbranch_vccz .LBB22_31
; %bb.27:
	s_lshl_b64 s[2:3], s[2:3], 3
	s_lshl_b64 s[18:19], s[18:19], 3
	v_ashrrev_i32_e32 v2, 31, v1
	s_add_u32 s17, s2, s18
	s_addc_u32 s18, s3, s19
	s_lshl_b64 s[2:3], s[14:15], 3
	s_add_u32 s2, s2, s17
	v_lshlrev_b64 v[5:6], 3, v[1:2]
	s_addc_u32 s3, s3, s18
	v_add_co_u32 v2, vcc_lo, s2, v3
	v_add_co_ci_u32_e64 v3, null, s3, v4, vcc_lo
	s_lshl_b64 s[2:3], s[10:11], 3
	v_add_co_u32 v2, vcc_lo, v2, v5
	v_add_co_ci_u32_e64 v3, null, v3, v6, vcc_lo
	v_lshl_add_u32 v6, v1, 3, v9
	v_add_co_u32 v2, vcc_lo, s12, v2
	v_add_co_ci_u32_e64 v3, null, s13, v3, vcc_lo
	s_lshl_b32 s10, s22, 3
	s_mov_b32 s11, 0
	s_branch .LBB22_29
	.p2align	6
.LBB22_28:                              ;   in Loop: Header=BB22_29 Depth=1
	s_or_b32 exec_lo, exec_lo, s12
	v_add_co_u32 v2, vcc_lo, v2, s2
	s_waitcnt vmcnt(0) lgkmcnt(0)
	ds_write_b64 v6, v[4:5]
	v_add_co_ci_u32_e64 v3, null, s3, v3, vcc_lo
	v_add_nc_u32_e32 v6, s10, v6
	s_add_i32 s11, s11, 1
	s_cmp_eq_u32 s22, s11
	s_cbranch_scc1 .LBB22_31
.LBB22_29:                              ; =>This Inner Loop Header: Depth=1
	v_mov_b32_e32 v4, 0
	v_mov_b32_e32 v5, 0
	s_mov_b32 s12, exec_lo
	v_cmpx_le_i32_e64 s11, v1
	s_cbranch_execz .LBB22_28
; %bb.30:                               ;   in Loop: Header=BB22_29 Depth=1
	flat_load_dwordx2 v[4:5], v[2:3]
	s_branch .LBB22_28
.LBB22_31:
	s_or_b32 exec_lo, exec_lo, s16
	s_waitcnt lgkmcnt(0)
	s_barrier
	buffer_gl0_inv
	s_and_saveexec_b32 s2, s1
	s_cbranch_execz .LBB22_37
; %bb.32:
	s_add_i32 s3, s22, 1
	v_mov_b32_e32 v2, 0
	v_mul_i32_i24_e32 v4, s3, v1
	v_mov_b32_e32 v3, 0x3ff00000
	s_cmpk_eq_i32 s9, 0x84
	v_lshl_add_u32 v6, v4, 3, v9
	s_cbranch_scc1 .LBB22_36
; %bb.33:
	ds_read_b64 v[4:5], v6
	v_mov_b32_e32 v2, 0
	v_mov_b32_e32 v3, 0x3ff00000
	s_mov_b32 s3, exec_lo
	s_waitcnt lgkmcnt(0)
	v_cmpx_neq_f64_e32 0, v[4:5]
	s_cbranch_execz .LBB22_35
; %bb.34:
	v_div_scale_f64 v[2:3], null, v[4:5], v[4:5], 1.0
	v_rcp_f64_e32 v[7:8], v[2:3]
	v_fma_f64 v[10:11], -v[2:3], v[7:8], 1.0
	v_fma_f64 v[7:8], v[7:8], v[10:11], v[7:8]
	v_fma_f64 v[10:11], -v[2:3], v[7:8], 1.0
	v_fma_f64 v[7:8], v[7:8], v[10:11], v[7:8]
	v_div_scale_f64 v[10:11], vcc_lo, 1.0, v[4:5], 1.0
	v_mul_f64 v[12:13], v[10:11], v[7:8]
	v_fma_f64 v[2:3], -v[2:3], v[12:13], v[10:11]
	v_div_fmas_f64 v[2:3], v[2:3], v[7:8], v[12:13]
	v_div_fixup_f64 v[2:3], v[2:3], v[4:5], 1.0
.LBB22_35:
	s_or_b32 exec_lo, exec_lo, s3
.LBB22_36:
	ds_write_b64 v6, v[2:3]
.LBB22_37:
	s_or_b32 exec_lo, exec_lo, s2
	s_waitcnt lgkmcnt(0)
	s_barrier
	buffer_gl0_inv
	s_and_saveexec_b32 s2, s1
	s_cbranch_execz .LBB22_49
; %bb.38:
	s_add_i32 s3, s22, 1
	v_lshlrev_b32_e32 v2, 3, v1
	v_mul_i32_i24_e32 v3, s3, v1
	s_lshl_b32 s3, s22, 3
	v_add_nc_u32_e32 v4, 8, v9
	s_add_i32 s9, s3, 8
	v_add_nc_u32_e32 v5, v9, v2
	v_lshl_add_u32 v6, v3, 3, v9
	v_add3_u32 v7, v2, s3, v9
	s_mov_b32 s10, 0
	s_branch .LBB22_40
.LBB22_39:                              ;   in Loop: Header=BB22_40 Depth=1
	s_inst_prefetch 0x2
	v_add_nc_u32_e32 v4, s9, v4
	v_add_nc_u32_e32 v7, s3, v7
	s_cmp_eq_u32 s10, s22
	s_cbranch_scc1 .LBB22_49
.LBB22_40:                              ; =>This Loop Header: Depth=1
                                        ;     Child Loop BB22_45 Depth 2
	v_mov_b32_e32 v2, 0
	v_mov_b32_e32 v3, 0
	s_mul_i32 s11, s10, s22
	s_mov_b32 s12, exec_lo
	v_cmpx_lt_i32_e64 s10, v1
	s_cbranch_execz .LBB22_42
; %bb.41:                               ;   in Loop: Header=BB22_40 Depth=1
	s_lshl_b32 s13, s11, 3
	s_lshl_b32 s14, s10, 3
	v_add_nc_u32_e32 v2, s13, v5
	v_add3_u32 v8, s13, s14, v9
	ds_read_b64 v[2:3], v2
	ds_read_b64 v[10:11], v8
	s_waitcnt lgkmcnt(0)
	v_fma_f64 v[2:3], v[2:3], v[10:11], 0
.LBB22_42:                              ;   in Loop: Header=BB22_40 Depth=1
	s_or_b32 exec_lo, exec_lo, s12
	s_add_i32 s10, s10, 1
	s_cmp_ge_u32 s10, s22
	s_cbranch_scc1 .LBB22_39
; %bb.43:                               ;   in Loop: Header=BB22_40 Depth=1
	v_lshl_add_u32 v8, s11, 3, v5
	v_mov_b32_e32 v10, v7
	v_mov_b32_e32 v11, v4
	s_mov_b32 s11, s10
	s_inst_prefetch 0x1
	s_branch .LBB22_45
	.p2align	6
.LBB22_44:                              ;   in Loop: Header=BB22_45 Depth=2
	s_or_b32 exec_lo, exec_lo, s12
	v_add_nc_u32_e32 v11, 8, v11
	v_add_nc_u32_e32 v10, s3, v10
	s_add_i32 s11, s11, 1
	s_cmp_eq_u32 s22, s11
	s_cbranch_scc1 .LBB22_39
.LBB22_45:                              ;   Parent Loop BB22_40 Depth=1
                                        ; =>  This Inner Loop Header: Depth=2
	s_mov_b32 s12, exec_lo
	v_cmpx_eq_u32_e64 s11, v1
	s_cbranch_execz .LBB22_47
; %bb.46:                               ;   in Loop: Header=BB22_45 Depth=2
	v_add_f64 v[12:13], -v[2:3], 0
	ds_read_b64 v[14:15], v6
	s_waitcnt lgkmcnt(0)
	v_mul_f64 v[12:13], v[12:13], v[14:15]
	ds_write_b64 v8, v[12:13]
.LBB22_47:                              ;   in Loop: Header=BB22_45 Depth=2
	s_or_b32 exec_lo, exec_lo, s12
	s_mov_b32 s12, exec_lo
	v_cmpx_lt_i32_e64 s11, v1
	s_cbranch_execz .LBB22_44
; %bb.48:                               ;   in Loop: Header=BB22_45 Depth=2
	ds_read_b64 v[12:13], v10
	ds_read_b64 v[14:15], v11
	s_waitcnt lgkmcnt(0)
	v_fma_f64 v[2:3], v[12:13], v[14:15], v[2:3]
	s_branch .LBB22_44
.LBB22_49:
	s_or_b32 exec_lo, exec_lo, s2
	s_and_b32 s2, s22, 0xffff
	v_cvt_f32_ubyte0_e32 v4, v0
	v_cvt_f32_u32_e32 v2, s2
	s_mul_i32 s2, s22, s22
	s_cmpk_lg_i32 s8, 0x7a
	v_cmp_gt_u32_e64 s2, s2, v0
	s_cselect_b32 s3, -1, 0
	v_rcp_iflag_f32_e32 v3, v2
	s_mov_b32 s8, -1
	s_waitcnt lgkmcnt(0)
	s_barrier
	buffer_gl0_inv
	v_mul_f32_e32 v3, v4, v3
	v_trunc_f32_e32 v3, v3
	v_fma_f32 v4, -v3, v2, v4
	v_cvt_u32_f32_e32 v3, v3
	v_cmp_ge_f32_e64 vcc_lo, |v4|, v2
	v_add_co_ci_u32_e64 v2, null, 0, v3, vcc_lo
	s_and_b32 vcc_lo, exec_lo, s3
	v_mul_lo_u16 v3, v2, s22
	v_and_b32_e32 v4, 0xffff, v2
	v_sub_nc_u16 v3, v0, v3
	v_and_b32_e32 v0, 0xffff, v3
	s_cbranch_vccz .LBB22_55
; %bb.50:
	s_and_saveexec_b32 s8, s2
	s_cbranch_execz .LBB22_54
; %bb.51:
	v_lshlrev_b32_e32 v5, 7, v4
	v_mov_b32_e32 v2, 0
	v_lshlrev_b32_e32 v6, 3, v0
	v_mov_b32_e32 v3, 0
	s_mov_b32 s10, -1
	v_sub_nc_u32_e32 v7, 0x1ff8, v5
	s_mov_b32 s9, 0
.LBB22_52:                              ; =>This Inner Loop Header: Depth=1
	ds_read_b64 v[10:11], v6
	ds_read_b64 v[12:13], v7
	s_add_i32 s10, s10, 1
	v_add_nc_u32_e32 v7, -8, v7
	v_cmp_ge_u32_e32 vcc_lo, s10, v4
	v_add_nc_u32_e32 v6, 0x80, v6
	s_or_b32 s9, vcc_lo, s9
	s_waitcnt lgkmcnt(0)
	v_fma_f64 v[2:3], v[10:11], v[12:13], v[2:3]
	s_andn2_b32 exec_lo, exec_lo, s9
	s_cbranch_execnz .LBB22_52
; %bb.53:
	s_or_b32 exec_lo, exec_lo, s9
	v_lshl_add_u32 v5, v0, 3, v5
	ds_write_b64 v5, v[2:3] offset:2048
.LBB22_54:
	s_or_b32 exec_lo, exec_lo, s8
	s_mov_b32 s8, 0
.LBB22_55:
	s_andn2_b32 vcc_lo, exec_lo, s8
	s_cbranch_vccnz .LBB22_65
; %bb.56:
	s_and_saveexec_b32 s8, s2
	s_cbranch_execz .LBB22_64
; %bb.57:
	v_lshlrev_b32_e32 v5, 7, v4
	s_mov_b32 s9, exec_lo
	v_cmpx_lt_u16_e32 15, v4
	s_xor_b32 s9, exec_lo, s9
; %bb.58:
	v_lshlrev_b32_e32 v5, 7, v4
; %bb.59:
	s_or_saveexec_b32 s9, s9
	v_mov_b32_e32 v2, 0
	v_mov_b32_e32 v3, 0
	s_xor_b32 exec_lo, exec_lo, s9
	s_cbranch_execz .LBB22_63
; %bb.60:
	s_movk_i32 s10, 0x88
	v_mov_b32_e32 v2, 0
	v_add_nc_u32_e32 v6, -1, v4
	v_mad_u32_u24 v7, v4, s10, 0x1000
	v_mov_b32_e32 v3, 0
	v_lshl_add_u32 v8, v0, 3, v5
	s_mov_b32 s10, 0
.LBB22_61:                              ; =>This Inner Loop Header: Depth=1
	ds_read_b64 v[10:11], v8
	ds_read_b64 v[12:13], v7
	v_add_nc_u32_e32 v6, 1, v6
	v_add_nc_u32_e32 v7, 8, v7
	v_add_nc_u32_e32 v8, 0x80, v8
	v_cmp_lt_u32_e32 vcc_lo, 14, v6
	s_or_b32 s10, vcc_lo, s10
	s_waitcnt lgkmcnt(0)
	v_fma_f64 v[2:3], v[10:11], v[12:13], v[2:3]
	s_andn2_b32 exec_lo, exec_lo, s10
	s_cbranch_execnz .LBB22_61
; %bb.62:
	s_or_b32 exec_lo, exec_lo, s10
.LBB22_63:
	s_or_b32 exec_lo, exec_lo, s9
	v_lshl_add_u32 v5, v0, 3, v5
	ds_write_b64 v5, v[2:3] offset:2048
.LBB22_64:
	s_or_b32 exec_lo, exec_lo, s8
.LBB22_65:
	s_clause 0x1
	s_load_dword s8, s[4:5], 0x48
	s_load_dwordx2 s[12:13], s[4:5], 0x58
	s_lshl_b64 s[4:5], s[20:21], 3
	s_waitcnt lgkmcnt(0)
	s_barrier
	buffer_gl0_inv
	s_ashr_i32 s9, s8, 31
	s_add_u32 s14, s6, s4
	s_addc_u32 s15, s7, s5
	s_lshl_b64 s[10:11], s[8:9], 5
	s_mul_i32 s13, s13, s24
	s_add_u32 s10, s10, 32
	s_addc_u32 s11, s11, 0
	s_mul_hi_u32 s16, s10, s25
	s_mul_i32 s11, s11, s25
	s_mul_i32 s10, s10, s25
	s_add_i32 s11, s16, s11
	s_mul_hi_u32 s16, s12, s24
	s_lshl_b64 s[10:11], s[10:11], 3
	s_mul_i32 s12, s12, s24
	s_add_u32 s14, s14, s10
	s_addc_u32 s15, s15, s11
	s_add_i32 s13, s16, s13
	s_mov_b32 s16, -1
	s_lshl_b64 s[12:13], s[12:13], 3
	s_add_u32 s14, s14, s12
	s_addc_u32 s15, s15, s13
	s_and_b32 vcc_lo, exec_lo, s3
	s_cbranch_vccnz .LBB22_68
; %bb.66:
	s_andn2_b32 vcc_lo, exec_lo, s16
	s_cbranch_vccz .LBB22_73
.LBB22_67:
	s_and_saveexec_b32 s2, s1
	s_cbranch_execnz .LBB22_78
	s_branch .LBB22_89
.LBB22_68:
	s_and_saveexec_b32 s16, s2
	s_cbranch_execz .LBB22_72
; %bb.69:
	v_lshlrev_b32_e32 v5, 3, v0
	s_lshl_b32 s18, s22, 3
	v_mul_u32_u24_e32 v3, s22, v4
	v_add_nc_u32_e32 v6, -1, v0
	s_mov_b32 s17, 0
	v_sub_nc_u32_e32 v2, s18, v5
	s_sub_i32 s18, 0, s18
	v_lshlrev_b32_e32 v3, 3, v3
	v_mul_i32_i24_e32 v2, s22, v2
	v_add3_u32 v7, v3, v5, 0x800
	v_sub_nc_u32_e32 v8, v2, v5
	v_mov_b32_e32 v2, 0
	v_mov_b32_e32 v3, 0
	v_add_nc_u32_e32 v8, 0xff8, v8
.LBB22_70:                              ; =>This Inner Loop Header: Depth=1
	ds_read_b64 v[10:11], v8
	ds_read_b64 v[12:13], v7
	v_add_nc_u32_e32 v6, 1, v6
	v_add_nc_u32_e32 v7, 8, v7
	;; [unrolled: 1-line block ×3, first 2 shown]
	v_cmp_lt_u32_e32 vcc_lo, 14, v6
	s_or_b32 s17, vcc_lo, s17
	s_waitcnt lgkmcnt(0)
	v_fma_f64 v[2:3], -v[10:11], v[12:13], v[2:3]
	s_andn2_b32 exec_lo, exec_lo, s17
	s_cbranch_execnz .LBB22_70
; %bb.71:
	s_or_b32 exec_lo, exec_lo, s17
	v_mad_i64_i32 v[6:7], null, v4, s8, 0
	s_mul_hi_i32 s19, s22, s8
	s_mul_i32 s18, s22, s8
	s_lshl_b64 s[18:19], s[18:19], 3
	s_add_u32 s17, s14, s18
	v_lshlrev_b64 v[6:7], 3, v[6:7]
	s_addc_u32 s18, s15, s19
	v_add_co_u32 v5, s17, s17, v5
	v_add_co_ci_u32_e64 v8, null, s18, 0, s17
	v_add_co_u32 v5, vcc_lo, v5, v6
	v_add_co_ci_u32_e64 v6, null, v8, v7, vcc_lo
	flat_store_dwordx2 v[5:6], v[2:3]
.LBB22_72:
	s_or_b32 exec_lo, exec_lo, s16
	s_cbranch_execnz .LBB22_67
.LBB22_73:
	s_and_saveexec_b32 s16, s2
	s_cbranch_execz .LBB22_77
; %bb.74:
	v_mul_u32_u24_e32 v6, s22, v4
	v_mov_b32_e32 v2, 0
	v_lshl_add_u32 v5, v0, 3, 0x1800
	v_mov_b32_e32 v3, 0
	s_lshl_b32 s2, s22, 3
	v_lshl_add_u32 v6, v6, 3, 0x800
	s_mov_b32 s18, -1
	s_mov_b32 s17, 0
.LBB22_75:                              ; =>This Inner Loop Header: Depth=1
	ds_read_b64 v[7:8], v5
	ds_read_b64 v[10:11], v6
	s_add_i32 s18, s18, 1
	v_add_nc_u32_e32 v6, 8, v6
	v_cmp_ge_u32_e32 vcc_lo, s18, v0
	v_add_nc_u32_e32 v5, s2, v5
	s_or_b32 s17, vcc_lo, s17
	s_waitcnt lgkmcnt(0)
	v_fma_f64 v[2:3], -v[7:8], v[10:11], v[2:3]
	s_andn2_b32 exec_lo, exec_lo, s17
	s_cbranch_execnz .LBB22_75
; %bb.76:
	s_or_b32 exec_lo, exec_lo, s17
	v_mad_i64_i32 v[4:5], null, v4, s8, 0
	v_add_lshl_u32 v0, s22, v0, 3
	v_lshlrev_b64 v[4:5], 3, v[4:5]
	v_add_co_u32 v4, vcc_lo, s14, v4
	v_add_co_ci_u32_e64 v5, null, s15, v5, vcc_lo
	v_add_co_u32 v4, vcc_lo, v4, v0
	v_add_co_ci_u32_e64 v5, null, 0, v5, vcc_lo
	flat_store_dwordx2 v[4:5], v[2:3]
.LBB22_77:
	s_or_b32 exec_lo, exec_lo, s16
	s_and_saveexec_b32 s2, s1
	s_cbranch_execz .LBB22_89
.LBB22_78:
	v_mov_b32_e32 v3, 0
	v_mov_b32_e32 v4, 0
	s_and_saveexec_b32 s1, s0
	s_cbranch_execnz .LBB22_81
; %bb.79:
	s_or_b32 exec_lo, exec_lo, s1
	s_and_b32 vcc_lo, exec_lo, s3
	s_mov_b32 s0, -1
	s_cbranch_vccnz .LBB22_82
.LBB22_80:
	s_andn2_b32 vcc_lo, exec_lo, s0
	s_cbranch_vccz .LBB22_86
	s_branch .LBB22_89
.LBB22_81:
	s_add_u32 s0, s8, 1
	s_addc_u32 s2, s9, 0
	s_mul_hi_u32 s16, s0, s22
	s_mul_i32 s2, s2, s22
	s_add_i32 s17, s16, s2
	s_mul_i32 s16, s0, s22
	v_mov_b32_e32 v3, s16
	v_mov_b32_e32 v4, s17
	s_or_b32 exec_lo, exec_lo, s1
	s_and_b32 vcc_lo, exec_lo, s3
	s_mov_b32 s0, -1
	s_cbranch_vccz .LBB22_80
.LBB22_82:
	s_mov_b32 s1, exec_lo
	v_cmpx_gt_i32_e64 s22, v1
	s_cbranch_execz .LBB22_85
; %bb.83:
	s_cmp_lt_u32 s23, 16
	v_ashrrev_i32_e32 v2, 31, v1
	s_cselect_b32 s0, s23, 16
	s_cselect_b32 s2, 0, 0
	s_add_u32 s0, s0, -1
	s_addc_u32 s2, s2, -1
	s_mul_i32 s3, s0, s9
	s_mul_hi_u32 s16, s0, s8
	s_mul_i32 s2, s2, s8
	s_add_i32 s3, s16, s3
	v_lshlrev_b64 v[5:6], 3, v[3:4]
	s_add_i32 s3, s3, s2
	s_mul_i32 s2, s0, s8
	v_lshlrev_b64 v[7:8], 3, v[1:2]
	s_lshl_b64 s[2:3], s[2:3], 3
	v_xad_u32 v0, v1, -1, s22
	s_add_u32 s0, s2, s12
	s_addc_u32 s2, s3, s13
	s_add_u32 s0, s0, s10
	s_addc_u32 s2, s2, s11
	s_add_u32 s0, s4, s0
	s_addc_u32 s2, s5, s2
	v_add_co_u32 v2, vcc_lo, s0, v5
	v_add_co_ci_u32_e64 v5, null, s2, v6, vcc_lo
	v_lshl_add_u32 v0, v0, 3, v9
	v_add_co_u32 v2, vcc_lo, v2, v7
	v_add_co_ci_u32_e64 v6, null, v5, v8, vcc_lo
	s_lshl_b64 s[4:5], s[8:9], 3
	v_add_co_u32 v5, vcc_lo, s6, v2
	v_add_co_ci_u32_e64 v6, null, s7, v6, vcc_lo
	s_sub_u32 s3, 0, s4
	s_mov_b32 s2, 0
	s_subb_u32 s4, 0, s5
	s_lshl_b32 s5, s22, 3
	s_mov_b32 s6, s22
.LBB22_84:                              ; =>This Inner Loop Header: Depth=1
	ds_read_b64 v[7:8], v0
	s_add_i32 s6, s6, -1
	v_add_nc_u32_e32 v0, s5, v0
	v_cmp_le_i32_e32 vcc_lo, s6, v1
	s_or_b32 s2, vcc_lo, s2
	s_waitcnt lgkmcnt(0)
	flat_store_dwordx2 v[5:6], v[7:8]
	v_add_co_u32 v5, s0, v5, s3
	v_add_co_ci_u32_e64 v6, null, s4, v6, s0
	s_andn2_b32 exec_lo, exec_lo, s2
	s_cbranch_execnz .LBB22_84
.LBB22_85:
	s_or_b32 exec_lo, exec_lo, s1
	s_cbranch_execnz .LBB22_89
.LBB22_86:
	v_cmp_lt_i32_e32 vcc_lo, -1, v1
	s_and_b32 exec_lo, exec_lo, vcc_lo
	s_cbranch_execz .LBB22_89
; %bb.87:
	v_mov_b32_e32 v2, 0
	v_lshlrev_b64 v[3:4], 3, v[3:4]
	v_lshl_add_u32 v0, v1, 3, v9
	s_lshl_b64 s[2:3], s[8:9], 3
	s_lshl_b32 s1, s22, 3
	v_lshlrev_b64 v[5:6], 3, v[1:2]
	v_add_nc_u32_e32 v1, 1, v1
	v_add_co_u32 v2, vcc_lo, s14, v3
	v_add_co_ci_u32_e64 v3, null, s15, v4, vcc_lo
	s_mov_b32 s4, 0
	v_add_co_u32 v2, vcc_lo, v2, v5
	v_add_co_ci_u32_e64 v3, null, v3, v6, vcc_lo
.LBB22_88:                              ; =>This Inner Loop Header: Depth=1
	ds_read_b64 v[4:5], v0
	v_add_nc_u32_e32 v1, -1, v1
	v_add_nc_u32_e32 v0, s1, v0
	v_cmp_eq_u32_e32 vcc_lo, 0, v1
	s_or_b32 s4, vcc_lo, s4
	s_waitcnt lgkmcnt(0)
	flat_store_dwordx2 v[2:3], v[4:5]
	v_add_co_u32 v2, s0, v2, s2
	v_add_co_ci_u32_e64 v3, null, s3, v3, s0
	s_andn2_b32 exec_lo, exec_lo, s4
	s_cbranch_execnz .LBB22_88
.LBB22_89:
	s_endpgm
	.section	.rodata,"a",@progbits
	.p2align	6, 0x0
	.amdhsa_kernel _ZL29rocblas_trtri_diagonal_kernelILi16EdPKPKdPKPdEv13rocblas_fill_17rocblas_diagonal_iT1_lillT2_lilli
		.amdhsa_group_segment_fixed_size 8192
		.amdhsa_private_segment_fixed_size 0
		.amdhsa_kernarg_size 100
		.amdhsa_user_sgpr_count 6
		.amdhsa_user_sgpr_private_segment_buffer 1
		.amdhsa_user_sgpr_dispatch_ptr 0
		.amdhsa_user_sgpr_queue_ptr 0
		.amdhsa_user_sgpr_kernarg_segment_ptr 1
		.amdhsa_user_sgpr_dispatch_id 0
		.amdhsa_user_sgpr_flat_scratch_init 0
		.amdhsa_user_sgpr_private_segment_size 0
		.amdhsa_wavefront_size32 1
		.amdhsa_uses_dynamic_stack 0
		.amdhsa_system_sgpr_private_segment_wavefront_offset 0
		.amdhsa_system_sgpr_workgroup_id_x 1
		.amdhsa_system_sgpr_workgroup_id_y 0
		.amdhsa_system_sgpr_workgroup_id_z 1
		.amdhsa_system_sgpr_workgroup_info 0
		.amdhsa_system_vgpr_workitem_id 0
		.amdhsa_next_free_vgpr 16
		.amdhsa_next_free_sgpr 37
		.amdhsa_reserve_vcc 1
		.amdhsa_reserve_flat_scratch 0
		.amdhsa_float_round_mode_32 0
		.amdhsa_float_round_mode_16_64 0
		.amdhsa_float_denorm_mode_32 3
		.amdhsa_float_denorm_mode_16_64 3
		.amdhsa_dx10_clamp 1
		.amdhsa_ieee_mode 1
		.amdhsa_fp16_overflow 0
		.amdhsa_workgroup_processor_mode 1
		.amdhsa_memory_ordered 1
		.amdhsa_forward_progress 1
		.amdhsa_shared_vgpr_count 0
		.amdhsa_exception_fp_ieee_invalid_op 0
		.amdhsa_exception_fp_denorm_src 0
		.amdhsa_exception_fp_ieee_div_zero 0
		.amdhsa_exception_fp_ieee_overflow 0
		.amdhsa_exception_fp_ieee_underflow 0
		.amdhsa_exception_fp_ieee_inexact 0
		.amdhsa_exception_int_div_zero 0
	.end_amdhsa_kernel
	.section	.text._ZL29rocblas_trtri_diagonal_kernelILi16EdPKPKdPKPdEv13rocblas_fill_17rocblas_diagonal_iT1_lillT2_lilli,"axG",@progbits,_ZL29rocblas_trtri_diagonal_kernelILi16EdPKPKdPKPdEv13rocblas_fill_17rocblas_diagonal_iT1_lillT2_lilli,comdat
.Lfunc_end22:
	.size	_ZL29rocblas_trtri_diagonal_kernelILi16EdPKPKdPKPdEv13rocblas_fill_17rocblas_diagonal_iT1_lillT2_lilli, .Lfunc_end22-_ZL29rocblas_trtri_diagonal_kernelILi16EdPKPKdPKPdEv13rocblas_fill_17rocblas_diagonal_iT1_lillT2_lilli
                                        ; -- End function
	.set _ZL29rocblas_trtri_diagonal_kernelILi16EdPKPKdPKPdEv13rocblas_fill_17rocblas_diagonal_iT1_lillT2_lilli.num_vgpr, 16
	.set _ZL29rocblas_trtri_diagonal_kernelILi16EdPKPKdPKPdEv13rocblas_fill_17rocblas_diagonal_iT1_lillT2_lilli.num_agpr, 0
	.set _ZL29rocblas_trtri_diagonal_kernelILi16EdPKPKdPKPdEv13rocblas_fill_17rocblas_diagonal_iT1_lillT2_lilli.numbered_sgpr, 37
	.set _ZL29rocblas_trtri_diagonal_kernelILi16EdPKPKdPKPdEv13rocblas_fill_17rocblas_diagonal_iT1_lillT2_lilli.num_named_barrier, 0
	.set _ZL29rocblas_trtri_diagonal_kernelILi16EdPKPKdPKPdEv13rocblas_fill_17rocblas_diagonal_iT1_lillT2_lilli.private_seg_size, 0
	.set _ZL29rocblas_trtri_diagonal_kernelILi16EdPKPKdPKPdEv13rocblas_fill_17rocblas_diagonal_iT1_lillT2_lilli.uses_vcc, 1
	.set _ZL29rocblas_trtri_diagonal_kernelILi16EdPKPKdPKPdEv13rocblas_fill_17rocblas_diagonal_iT1_lillT2_lilli.uses_flat_scratch, 0
	.set _ZL29rocblas_trtri_diagonal_kernelILi16EdPKPKdPKPdEv13rocblas_fill_17rocblas_diagonal_iT1_lillT2_lilli.has_dyn_sized_stack, 0
	.set _ZL29rocblas_trtri_diagonal_kernelILi16EdPKPKdPKPdEv13rocblas_fill_17rocblas_diagonal_iT1_lillT2_lilli.has_recursion, 0
	.set _ZL29rocblas_trtri_diagonal_kernelILi16EdPKPKdPKPdEv13rocblas_fill_17rocblas_diagonal_iT1_lillT2_lilli.has_indirect_call, 0
	.section	.AMDGPU.csdata,"",@progbits
; Kernel info:
; codeLenInByte = 3444
; TotalNumSgprs: 39
; NumVgprs: 16
; ScratchSize: 0
; MemoryBound: 0
; FloatMode: 240
; IeeeMode: 1
; LDSByteSize: 8192 bytes/workgroup (compile time only)
; SGPRBlocks: 0
; VGPRBlocks: 1
; NumSGPRsForWavesPerEU: 39
; NumVGPRsForWavesPerEU: 16
; Occupancy: 16
; WaveLimiterHint : 1
; COMPUTE_PGM_RSRC2:SCRATCH_EN: 0
; COMPUTE_PGM_RSRC2:USER_SGPR: 6
; COMPUTE_PGM_RSRC2:TRAP_HANDLER: 0
; COMPUTE_PGM_RSRC2:TGID_X_EN: 1
; COMPUTE_PGM_RSRC2:TGID_Y_EN: 0
; COMPUTE_PGM_RSRC2:TGID_Z_EN: 1
; COMPUTE_PGM_RSRC2:TIDIG_COMP_CNT: 0
	.section	.text._ZL30rocblas_trtri_remainder_kernelILi16EdPKPKdPKPdEv13rocblas_fill_17rocblas_diagonal_iT1_lillT2_lilli,"axG",@progbits,_ZL30rocblas_trtri_remainder_kernelILi16EdPKPKdPKPdEv13rocblas_fill_17rocblas_diagonal_iT1_lillT2_lilli,comdat
	.globl	_ZL30rocblas_trtri_remainder_kernelILi16EdPKPKdPKPdEv13rocblas_fill_17rocblas_diagonal_iT1_lillT2_lilli ; -- Begin function _ZL30rocblas_trtri_remainder_kernelILi16EdPKPKdPKPdEv13rocblas_fill_17rocblas_diagonal_iT1_lillT2_lilli
	.p2align	8
	.type	_ZL30rocblas_trtri_remainder_kernelILi16EdPKPKdPKPdEv13rocblas_fill_17rocblas_diagonal_iT1_lillT2_lilli,@function
_ZL30rocblas_trtri_remainder_kernelILi16EdPKPKdPKPdEv13rocblas_fill_17rocblas_diagonal_iT1_lillT2_lilli: ; @_ZL30rocblas_trtri_remainder_kernelILi16EdPKPKdPKPdEv13rocblas_fill_17rocblas_diagonal_iT1_lillT2_lilli
; %bb.0:
	s_load_dwordx4 s[8:11], s[4:5], 0x0
	s_waitcnt lgkmcnt(0)
	s_cmp_lt_i32 s10, 1
	s_cbranch_scc1 .LBB23_36
; %bb.1:
	s_clause 0x1
	s_load_dwordx4 s[16:19], s[4:5], 0x30
	s_load_dwordx2 s[20:21], s[4:5], 0x40
	s_mov_b32 s0, s7
	s_mov_b32 s1, 0
	s_lshl_b64 s[2:3], s[0:1], 3
	s_waitcnt lgkmcnt(0)
	s_add_u32 s0, s18, s2
	s_addc_u32 s1, s19, s3
	s_load_dwordx2 s[18:19], s[0:1], 0x0
	v_cmp_le_u32_e64 s1, s10, v0
	v_cmp_gt_u32_e64 s0, s10, v0
	s_and_saveexec_b32 s7, s0
	s_cbranch_execz .LBB23_9
; %bb.2:
	s_clause 0x1
	s_load_dwordx4 s[12:15], s[4:5], 0x10
	s_load_dword s22, s[4:5], 0x20
	s_waitcnt lgkmcnt(0)
	s_add_u32 s2, s12, s2
	s_addc_u32 s3, s13, s3
	s_load_dwordx2 s[12:13], s[2:3], 0x0
	s_mul_i32 s2, s17, s6
	s_mul_hi_u32 s3, s16, s6
	s_mul_i32 s16, s16, s6
	s_add_i32 s17, s3, s2
	s_cmpk_lg_i32 s8, 0x7a
	s_mov_b32 s2, -1
	s_cbranch_scc0 .LBB23_6
; %bb.3:
	s_add_i32 s2, s10, -1
	s_ashr_i32 s23, s22, 31
	s_mul_hi_u32 s11, s22, s2
	s_mul_i32 s3, s23, s2
	v_sub_nc_u32_e32 v1, s2, v0
	s_add_i32 s3, s11, s3
	s_mul_i32 s2, s22, s2
	s_lshl_b64 s[24:25], s[16:17], 3
	s_lshl_b64 s[26:27], s[2:3], 3
	s_lshl_b32 s3, s10, 3
	s_add_u32 s2, s24, s26
	s_addc_u32 s11, s25, s27
	s_lshl_b64 s[24:25], s[14:15], 3
	v_lshlrev_b32_e32 v3, 3, v1
	v_lshlrev_b32_e32 v1, 3, v0
	s_add_u32 s2, s2, s24
	s_addc_u32 s11, s11, s25
	s_waitcnt lgkmcnt(0)
	s_add_u32 s2, s12, s2
	s_addc_u32 s11, s13, s11
	v_add_co_u32 v1, s2, s2, v1
	s_lshl_b64 s[24:25], s[22:23], 3
	v_add_co_ci_u32_e64 v2, null, s11, 0, s2
	s_sub_u32 s11, 0, s24
	s_subb_u32 s24, 0, s25
	s_mov_b32 s23, 0
	s_mov_b32 s25, s10
.LBB23_4:                               ; =>This Inner Loop Header: Depth=1
	flat_load_dwordx2 v[4:5], v[1:2]
	s_add_i32 s25, s25, -1
	v_add_co_u32 v1, vcc_lo, v1, s11
	v_cmp_le_u32_e64 s2, s25, v0
	v_add_co_ci_u32_e64 v2, null, s24, v2, vcc_lo
	s_or_b32 s23, s2, s23
	s_waitcnt vmcnt(0) lgkmcnt(0)
	ds_write_b64 v3, v[4:5]
	v_add_nc_u32_e32 v3, s3, v3
	s_andn2_b32 exec_lo, exec_lo, s23
	s_cbranch_execnz .LBB23_4
; %bb.5:
	s_or_b32 exec_lo, exec_lo, s23
	s_mov_b32 s2, 0
.LBB23_6:
	s_and_b32 vcc_lo, exec_lo, s2
	s_cbranch_vccz .LBB23_9
; %bb.7:
	s_lshl_b64 s[2:3], s[14:15], 3
	v_lshlrev_b32_e32 v3, 3, v0
	s_waitcnt lgkmcnt(0)
	s_add_u32 s11, s12, s2
	s_addc_u32 s12, s13, s3
	s_lshl_b64 s[2:3], s[16:17], 3
	v_add_nc_u32_e32 v4, 1, v0
	s_add_u32 s2, s11, s2
	s_addc_u32 s3, s12, s3
	v_add_co_u32 v1, s2, s2, v3
	v_add_co_ci_u32_e64 v2, null, s3, 0, s2
	s_ashr_i32 s23, s22, 31
	s_lshl_b32 s3, s10, 3
	s_lshl_b64 s[12:13], s[22:23], 3
	s_mov_b32 s11, 0
.LBB23_8:                               ; =>This Inner Loop Header: Depth=1
	flat_load_dwordx2 v[5:6], v[1:2]
	v_add_nc_u32_e32 v4, -1, v4
	v_add_co_u32 v1, vcc_lo, v1, s12
	v_add_co_ci_u32_e64 v2, null, s13, v2, vcc_lo
	v_cmp_eq_u32_e64 s2, 0, v4
	s_or_b32 s11, s2, s11
	s_waitcnt vmcnt(0) lgkmcnt(0)
	ds_write_b64 v3, v[5:6]
	v_add_nc_u32_e32 v3, s3, v3
	s_andn2_b32 exec_lo, exec_lo, s11
	s_cbranch_execnz .LBB23_8
.LBB23_9:
	s_or_b32 exec_lo, exec_lo, s7
	s_waitcnt lgkmcnt(0)
	s_barrier
	buffer_gl0_inv
                                        ; implicit-def: $vgpr1
	s_and_saveexec_b32 s2, s1
	s_xor_b32 s1, exec_lo, s2
; %bb.10:
	v_mad_u64_u32 v[1:2], null, v0, s10, v[0:1]
; %bb.11:
	s_andn2_saveexec_b32 s1, s1
	s_cbranch_execz .LBB23_17
; %bb.12:
	v_mad_u64_u32 v[1:2], null, v0, s10, v[0:1]
	v_mov_b32_e32 v2, 0
	v_mov_b32_e32 v3, 0x3ff00000
	s_cmpk_eq_i32 s9, 0x84
	v_lshlrev_b32_e32 v6, 3, v1
	s_cbranch_scc1 .LBB23_16
; %bb.13:
	ds_read_b64 v[4:5], v6
	v_mov_b32_e32 v2, 0
	v_mov_b32_e32 v3, 0x3ff00000
	s_mov_b32 s2, exec_lo
	s_waitcnt lgkmcnt(0)
	v_cmpx_neq_f64_e32 0, v[4:5]
	s_cbranch_execz .LBB23_15
; %bb.14:
	v_div_scale_f64 v[2:3], null, v[4:5], v[4:5], 1.0
	v_rcp_f64_e32 v[7:8], v[2:3]
	v_fma_f64 v[9:10], -v[2:3], v[7:8], 1.0
	v_fma_f64 v[7:8], v[7:8], v[9:10], v[7:8]
	v_fma_f64 v[9:10], -v[2:3], v[7:8], 1.0
	v_fma_f64 v[7:8], v[7:8], v[9:10], v[7:8]
	v_div_scale_f64 v[9:10], vcc_lo, 1.0, v[4:5], 1.0
	v_mul_f64 v[11:12], v[9:10], v[7:8]
	v_fma_f64 v[2:3], -v[2:3], v[11:12], v[9:10]
	v_div_fmas_f64 v[2:3], v[2:3], v[7:8], v[11:12]
	v_div_fixup_f64 v[2:3], v[2:3], v[4:5], 1.0
.LBB23_15:
	s_or_b32 exec_lo, exec_lo, s2
.LBB23_16:
	ds_write_b64 v6, v[2:3]
.LBB23_17:
	s_or_b32 exec_lo, exec_lo, s1
	v_lshlrev_b32_e32 v3, 3, v0
	s_lshl_b32 s1, s10, 3
	v_lshlrev_b32_e32 v4, 3, v1
	s_mov_b32 s2, 8
	s_add_i32 s3, s1, 8
	v_add_nc_u32_e32 v5, s1, v3
	s_mov_b32 s7, 0
	s_waitcnt lgkmcnt(0)
	s_barrier
	buffer_gl0_inv
	s_branch .LBB23_19
.LBB23_18:                              ;   in Loop: Header=BB23_19 Depth=1
	s_inst_prefetch 0x2
	v_add_nc_u32_e32 v5, s1, v5
	s_add_i32 s2, s2, s3
	s_cmp_eq_u32 s7, s10
	s_barrier
	buffer_gl0_inv
	s_cbranch_scc1 .LBB23_28
.LBB23_19:                              ; =>This Loop Header: Depth=1
                                        ;     Child Loop BB23_24 Depth 2
	v_mov_b32_e32 v1, 0
	v_mov_b32_e32 v2, 0
	s_mul_i32 s9, s7, s10
	s_mov_b32 s11, exec_lo
	v_cmpx_lt_u32_e64 s7, v0
	s_cbranch_execz .LBB23_21
; %bb.20:                               ;   in Loop: Header=BB23_19 Depth=1
	s_lshl_b32 s12, s7, 3
	s_lshl_b32 s13, s9, 3
	s_add_i32 s12, s12, s13
	v_add_nc_u32_e32 v1, s13, v3
	v_mov_b32_e32 v6, s12
	ds_read_b64 v[1:2], v1
	ds_read_b64 v[6:7], v6
	s_waitcnt lgkmcnt(0)
	v_fma_f64 v[1:2], v[1:2], v[6:7], 0
.LBB23_21:                              ;   in Loop: Header=BB23_19 Depth=1
	s_or_b32 exec_lo, exec_lo, s11
	s_add_i32 s7, s7, 1
	s_cmp_ge_i32 s7, s10
	s_barrier
	buffer_gl0_inv
	s_cbranch_scc1 .LBB23_18
; %bb.22:                               ;   in Loop: Header=BB23_19 Depth=1
	v_lshl_add_u32 v6, s9, 3, v3
	v_mov_b32_e32 v7, v5
	s_mov_b32 s9, s2
	s_mov_b32 s11, s7
	s_inst_prefetch 0x1
	s_branch .LBB23_24
	.p2align	6
.LBB23_23:                              ;   in Loop: Header=BB23_24 Depth=2
	s_or_b32 exec_lo, exec_lo, s12
	v_add_nc_u32_e32 v7, s1, v7
	s_add_i32 s11, s11, 1
	s_add_i32 s9, s9, 8
	s_cmp_eq_u32 s10, s11
	s_barrier
	buffer_gl0_inv
	s_cbranch_scc1 .LBB23_18
.LBB23_24:                              ;   Parent Loop BB23_19 Depth=1
                                        ; =>  This Inner Loop Header: Depth=2
	s_mov_b32 s12, exec_lo
	v_cmpx_eq_u32_e64 s11, v0
	s_cbranch_execz .LBB23_26
; %bb.25:                               ;   in Loop: Header=BB23_24 Depth=2
	v_add_f64 v[8:9], -v[1:2], 0
	ds_read_b64 v[10:11], v4
	s_waitcnt lgkmcnt(0)
	v_mul_f64 v[8:9], v[8:9], v[10:11]
	ds_write_b64 v6, v[8:9]
.LBB23_26:                              ;   in Loop: Header=BB23_24 Depth=2
	s_or_b32 exec_lo, exec_lo, s12
	s_mov_b32 s12, exec_lo
	s_waitcnt lgkmcnt(0)
	s_barrier
	buffer_gl0_inv
	v_cmpx_lt_u32_e64 s11, v0
	s_cbranch_execz .LBB23_23
; %bb.27:                               ;   in Loop: Header=BB23_24 Depth=2
	v_mov_b32_e32 v10, s9
	ds_read_b64 v[8:9], v7
	ds_read_b64 v[10:11], v10
	s_waitcnt lgkmcnt(0)
	v_fma_f64 v[1:2], v[8:9], v[10:11], v[1:2]
	s_branch .LBB23_23
.LBB23_28:
	s_and_saveexec_b32 s2, s0
	s_cbranch_execz .LBB23_36
; %bb.29:
	s_clause 0x1
	s_load_dwordx2 s[12:13], s[4:5], 0x58
	s_load_dword s2, s[4:5], 0x48
	s_waitcnt lgkmcnt(0)
	s_mul_i32 s0, s13, s6
	s_mul_hi_u32 s3, s12, s6
	s_mul_i32 s4, s12, s6
	s_add_i32 s5, s3, s0
	s_cmpk_lg_i32 s8, 0x7a
	s_mov_b32 s0, -1
	s_cbranch_scc0 .LBB23_33
; %bb.30:
	s_add_i32 s0, s10, -1
	s_ashr_i32 s3, s2, 31
	s_mul_hi_u32 s7, s2, s0
	s_mul_i32 s6, s3, s0
	v_sub_nc_u32_e32 v1, s0, v0
	s_add_i32 s7, s7, s6
	s_mul_i32 s6, s2, s0
	s_lshl_b64 s[8:9], s[4:5], 3
	s_lshl_b64 s[6:7], s[6:7], 3
	v_lshlrev_b32_e32 v4, 3, v1
	s_add_u32 s0, s8, s6
	s_addc_u32 s8, s9, s7
	s_lshl_b64 s[6:7], s[20:21], 3
	v_lshlrev_b32_e32 v1, 3, v0
	s_add_u32 s0, s0, s6
	s_addc_u32 s6, s8, s7
	s_add_u32 s0, s18, s0
	s_addc_u32 s8, s19, s6
	v_add_co_u32 v1, s0, s0, v1
	s_lshl_b64 s[6:7], s[2:3], 3
	v_add_co_ci_u32_e64 v2, null, s8, 0, s0
	s_sub_u32 s3, 0, s6
	s_subb_u32 s7, 0, s7
	s_mov_b32 s6, 0
.LBB23_31:                              ; =>This Inner Loop Header: Depth=1
	ds_read_b64 v[5:6], v4
	s_add_i32 s10, s10, -1
	v_add_nc_u32_e32 v4, s1, v4
	v_cmp_le_u32_e32 vcc_lo, s10, v0
	s_or_b32 s6, vcc_lo, s6
	s_waitcnt lgkmcnt(0)
	flat_store_dwordx2 v[1:2], v[5:6]
	v_add_co_u32 v1, s0, v1, s3
	v_add_co_ci_u32_e64 v2, null, s7, v2, s0
	s_andn2_b32 exec_lo, exec_lo, s6
	s_cbranch_execnz .LBB23_31
; %bb.32:
	s_or_b32 exec_lo, exec_lo, s6
	s_mov_b32 s0, 0
.LBB23_33:
	s_and_b32 vcc_lo, exec_lo, s0
	s_cbranch_vccz .LBB23_36
; %bb.34:
	s_lshl_b64 s[6:7], s[20:21], 3
	v_lshlrev_b32_e32 v1, 3, v0
	s_add_u32 s0, s18, s6
	s_addc_u32 s3, s19, s7
	s_lshl_b64 s[4:5], s[4:5], 3
	v_add_nc_u32_e32 v0, 1, v0
	s_add_u32 s0, s0, s4
	s_addc_u32 s4, s3, s5
	v_add_co_u32 v1, s0, s0, v1
	v_add_co_ci_u32_e64 v2, null, s4, 0, s0
	s_ashr_i32 s3, s2, 31
	s_mov_b32 s4, 0
	s_lshl_b64 s[2:3], s[2:3], 3
.LBB23_35:                              ; =>This Inner Loop Header: Depth=1
	ds_read_b64 v[4:5], v3
	v_add_nc_u32_e32 v0, -1, v0
	v_add_nc_u32_e32 v3, s1, v3
	v_cmp_eq_u32_e32 vcc_lo, 0, v0
	s_or_b32 s4, vcc_lo, s4
	s_waitcnt lgkmcnt(0)
	flat_store_dwordx2 v[1:2], v[4:5]
	v_add_co_u32 v1, s0, v1, s2
	v_add_co_ci_u32_e64 v2, null, s3, v2, s0
	s_andn2_b32 exec_lo, exec_lo, s4
	s_cbranch_execnz .LBB23_35
.LBB23_36:
	s_endpgm
	.section	.rodata,"a",@progbits
	.p2align	6, 0x0
	.amdhsa_kernel _ZL30rocblas_trtri_remainder_kernelILi16EdPKPKdPKPdEv13rocblas_fill_17rocblas_diagonal_iT1_lillT2_lilli
		.amdhsa_group_segment_fixed_size 8192
		.amdhsa_private_segment_fixed_size 0
		.amdhsa_kernarg_size 100
		.amdhsa_user_sgpr_count 6
		.amdhsa_user_sgpr_private_segment_buffer 1
		.amdhsa_user_sgpr_dispatch_ptr 0
		.amdhsa_user_sgpr_queue_ptr 0
		.amdhsa_user_sgpr_kernarg_segment_ptr 1
		.amdhsa_user_sgpr_dispatch_id 0
		.amdhsa_user_sgpr_flat_scratch_init 0
		.amdhsa_user_sgpr_private_segment_size 0
		.amdhsa_wavefront_size32 1
		.amdhsa_uses_dynamic_stack 0
		.amdhsa_system_sgpr_private_segment_wavefront_offset 0
		.amdhsa_system_sgpr_workgroup_id_x 1
		.amdhsa_system_sgpr_workgroup_id_y 0
		.amdhsa_system_sgpr_workgroup_id_z 1
		.amdhsa_system_sgpr_workgroup_info 0
		.amdhsa_system_vgpr_workitem_id 0
		.amdhsa_next_free_vgpr 13
		.amdhsa_next_free_sgpr 28
		.amdhsa_reserve_vcc 1
		.amdhsa_reserve_flat_scratch 0
		.amdhsa_float_round_mode_32 0
		.amdhsa_float_round_mode_16_64 0
		.amdhsa_float_denorm_mode_32 3
		.amdhsa_float_denorm_mode_16_64 3
		.amdhsa_dx10_clamp 1
		.amdhsa_ieee_mode 1
		.amdhsa_fp16_overflow 0
		.amdhsa_workgroup_processor_mode 1
		.amdhsa_memory_ordered 1
		.amdhsa_forward_progress 1
		.amdhsa_shared_vgpr_count 0
		.amdhsa_exception_fp_ieee_invalid_op 0
		.amdhsa_exception_fp_denorm_src 0
		.amdhsa_exception_fp_ieee_div_zero 0
		.amdhsa_exception_fp_ieee_overflow 0
		.amdhsa_exception_fp_ieee_underflow 0
		.amdhsa_exception_fp_ieee_inexact 0
		.amdhsa_exception_int_div_zero 0
	.end_amdhsa_kernel
	.section	.text._ZL30rocblas_trtri_remainder_kernelILi16EdPKPKdPKPdEv13rocblas_fill_17rocblas_diagonal_iT1_lillT2_lilli,"axG",@progbits,_ZL30rocblas_trtri_remainder_kernelILi16EdPKPKdPKPdEv13rocblas_fill_17rocblas_diagonal_iT1_lillT2_lilli,comdat
.Lfunc_end23:
	.size	_ZL30rocblas_trtri_remainder_kernelILi16EdPKPKdPKPdEv13rocblas_fill_17rocblas_diagonal_iT1_lillT2_lilli, .Lfunc_end23-_ZL30rocblas_trtri_remainder_kernelILi16EdPKPKdPKPdEv13rocblas_fill_17rocblas_diagonal_iT1_lillT2_lilli
                                        ; -- End function
	.set _ZL30rocblas_trtri_remainder_kernelILi16EdPKPKdPKPdEv13rocblas_fill_17rocblas_diagonal_iT1_lillT2_lilli.num_vgpr, 13
	.set _ZL30rocblas_trtri_remainder_kernelILi16EdPKPKdPKPdEv13rocblas_fill_17rocblas_diagonal_iT1_lillT2_lilli.num_agpr, 0
	.set _ZL30rocblas_trtri_remainder_kernelILi16EdPKPKdPKPdEv13rocblas_fill_17rocblas_diagonal_iT1_lillT2_lilli.numbered_sgpr, 28
	.set _ZL30rocblas_trtri_remainder_kernelILi16EdPKPKdPKPdEv13rocblas_fill_17rocblas_diagonal_iT1_lillT2_lilli.num_named_barrier, 0
	.set _ZL30rocblas_trtri_remainder_kernelILi16EdPKPKdPKPdEv13rocblas_fill_17rocblas_diagonal_iT1_lillT2_lilli.private_seg_size, 0
	.set _ZL30rocblas_trtri_remainder_kernelILi16EdPKPKdPKPdEv13rocblas_fill_17rocblas_diagonal_iT1_lillT2_lilli.uses_vcc, 1
	.set _ZL30rocblas_trtri_remainder_kernelILi16EdPKPKdPKPdEv13rocblas_fill_17rocblas_diagonal_iT1_lillT2_lilli.uses_flat_scratch, 0
	.set _ZL30rocblas_trtri_remainder_kernelILi16EdPKPKdPKPdEv13rocblas_fill_17rocblas_diagonal_iT1_lillT2_lilli.has_dyn_sized_stack, 0
	.set _ZL30rocblas_trtri_remainder_kernelILi16EdPKPKdPKPdEv13rocblas_fill_17rocblas_diagonal_iT1_lillT2_lilli.has_recursion, 0
	.set _ZL30rocblas_trtri_remainder_kernelILi16EdPKPKdPKPdEv13rocblas_fill_17rocblas_diagonal_iT1_lillT2_lilli.has_indirect_call, 0
	.section	.AMDGPU.csdata,"",@progbits
; Kernel info:
; codeLenInByte = 1484
; TotalNumSgprs: 30
; NumVgprs: 13
; ScratchSize: 0
; MemoryBound: 0
; FloatMode: 240
; IeeeMode: 1
; LDSByteSize: 8192 bytes/workgroup (compile time only)
; SGPRBlocks: 0
; VGPRBlocks: 1
; NumSGPRsForWavesPerEU: 30
; NumVGPRsForWavesPerEU: 13
; Occupancy: 16
; WaveLimiterHint : 0
; COMPUTE_PGM_RSRC2:SCRATCH_EN: 0
; COMPUTE_PGM_RSRC2:USER_SGPR: 6
; COMPUTE_PGM_RSRC2:TRAP_HANDLER: 0
; COMPUTE_PGM_RSRC2:TGID_X_EN: 1
; COMPUTE_PGM_RSRC2:TGID_Y_EN: 0
; COMPUTE_PGM_RSRC2:TGID_Z_EN: 1
; COMPUTE_PGM_RSRC2:TIDIG_COMP_CNT: 0
	.section	.text._ZL18rocblas_trtri_fillILi128E19rocblas_complex_numIfEPKPS1_EvP15_rocblas_handle13rocblas_fill_ililT1_llii,"axG",@progbits,_ZL18rocblas_trtri_fillILi128E19rocblas_complex_numIfEPKPS1_EvP15_rocblas_handle13rocblas_fill_ililT1_llii,comdat
	.globl	_ZL18rocblas_trtri_fillILi128E19rocblas_complex_numIfEPKPS1_EvP15_rocblas_handle13rocblas_fill_ililT1_llii ; -- Begin function _ZL18rocblas_trtri_fillILi128E19rocblas_complex_numIfEPKPS1_EvP15_rocblas_handle13rocblas_fill_ililT1_llii
	.p2align	8
	.type	_ZL18rocblas_trtri_fillILi128E19rocblas_complex_numIfEPKPS1_EvP15_rocblas_handle13rocblas_fill_ililT1_llii,@function
_ZL18rocblas_trtri_fillILi128E19rocblas_complex_numIfEPKPS1_EvP15_rocblas_handle13rocblas_fill_ililT1_llii: ; @_ZL18rocblas_trtri_fillILi128E19rocblas_complex_numIfEPKPS1_EvP15_rocblas_handle13rocblas_fill_ililT1_llii
; %bb.0:
	s_clause 0x1
	s_load_dword s1, s[4:5], 0x40
	s_load_dwordx2 s[2:3], s[4:5], 0x10
	s_mov_b32 s0, s7
	s_mov_b32 s7, 0
	s_lshl_b64 s[8:9], s[6:7], 7
	v_or_b32_e32 v0, s8, v0
	v_mov_b32_e32 v1, s9
	s_waitcnt lgkmcnt(0)
	s_ashr_i32 s6, s1, 31
	s_mul_hi_u32 s8, s2, s1
	s_mul_i32 s6, s2, s6
	s_mul_i32 s9, s3, s1
	s_add_i32 s6, s8, s6
	s_mul_i32 s12, s2, s1
	s_add_i32 s13, s6, s9
	s_mov_b32 s1, exec_lo
	v_cmpx_gt_u64_e64 s[12:13], v[0:1]
	s_cbranch_execz .LBB24_16
; %bb.1:
	s_clause 0x2
	s_load_dword s14, s[4:5], 0x18
	s_load_dwordx4 s[8:11], s[4:5], 0x20
	s_load_dwordx2 s[16:17], s[4:5], 0x30
	s_mov_b32 s1, s7
	v_cvt_f32_u32_e32 v2, s2
	s_lshl_b64 s[0:1], s[0:1], 3
	v_cvt_f32_u32_e32 v3, s3
	v_cvt_f32_u32_e32 v4, s2
	v_fmamk_f32 v2, v3, 0x4f800000, v2
	v_rcp_iflag_f32_e32 v3, v4
	v_rcp_f32_e32 v2, v2
	s_waitcnt lgkmcnt(0)
	s_ashr_i32 s15, s14, 31
	s_add_u32 s0, s10, s0
	s_addc_u32 s1, s11, s1
	v_mul_f32_e32 v3, 0x4f7ffffe, v3
	s_load_dwordx2 s[18:19], s[0:1], 0x0
	s_clause 0x2
	s_load_dwordx2 s[10:11], s[4:5], 0x8
	s_load_dword s0, s[4:5], 0x48
	s_load_dword s20, s[4:5], 0x54
	s_lshl_b64 s[4:5], s[16:17], 3
	v_mul_f32_e32 v4, 0x5f7ffffc, v2
	v_cvt_u32_f32_e32 v5, v3
	v_mul_f32_e32 v6, 0x2f800000, v4
	v_trunc_f32_e32 v6, v6
	v_fmamk_f32 v8, v6, 0xcf800000, v4
	s_waitcnt lgkmcnt(0)
	s_add_u32 s1, s18, s4
	s_addc_u32 s6, s19, s5
	s_add_i32 s4, s11, -1
	s_add_i32 s17, s11, -2
	s_mul_hi_i32 s5, s4, s11
	s_mul_i32 s4, s4, s11
	s_ashr_i32 s16, s11, 31
	s_lshl_b64 s[18:19], s[4:5], 2
	v_cvt_f64_i32_e32 v[2:3], s17
	s_add_u32 s17, s18, -7
	s_addc_u32 s18, s19, -1
	s_sub_i32 s19, 0, s2
	v_mov_b32_e32 v4, 0
	v_mul_lo_u32 v7, s19, v5
	v_cvt_u32_f32_e32 v11, v8
	v_cvt_u32_f32_e32 v12, v6
	s_and_b32 s20, s20, 0xffff
	s_lshr_b64 s[4:5], s[4:5], 1
	s_mul_hi_u32 s19, s20, s0
	s_mul_i32 s20, s20, s0
	v_mul_hi_u32 v7, v5, v7
	v_add_nc_u32_e32 v13, v5, v7
	s_branch .LBB24_3
.LBB24_2:                               ;   in Loop: Header=BB24_3 Depth=1
	v_add_co_u32 v0, vcc_lo, v0, s20
	v_add_co_ci_u32_e64 v1, null, s19, v1, vcc_lo
	v_cmp_le_u64_e32 vcc_lo, s[12:13], v[0:1]
	s_or_b32 s7, vcc_lo, s7
	s_andn2_b32 exec_lo, exec_lo, s7
	s_cbranch_execz .LBB24_16
.LBB24_3:                               ; =>This Inner Loop Header: Depth=1
	v_or_b32_e32 v5, s3, v1
	v_cmp_ne_u64_e32 vcc_lo, 0, v[4:5]
                                        ; implicit-def: $vgpr5_vgpr6
	s_and_saveexec_b32 s0, vcc_lo
	s_xor_b32 s21, exec_lo, s0
	s_cbranch_execz .LBB24_5
; %bb.4:                                ;   in Loop: Header=BB24_3 Depth=1
	v_readfirstlane_b32 s0, v11
	v_readfirstlane_b32 s22, v12
	s_sub_u32 s23, 0, s2
	s_subb_u32 s24, 0, s3
	s_mul_hi_u32 s25, s23, s0
	s_mul_i32 s26, s23, s22
	s_mul_i32 s27, s24, s0
	s_add_i32 s25, s25, s26
	s_mul_i32 s26, s23, s0
	s_add_i32 s25, s25, s27
	s_mul_hi_u32 s27, s0, s26
	s_mul_i32 s28, s0, s25
	s_mul_hi_u32 s29, s0, s25
	s_add_u32 s27, s27, s28
	s_mul_i32 s30, s22, s26
	s_addc_u32 s28, 0, s29
	s_mul_hi_u32 s26, s22, s26
	s_mul_hi_u32 s29, s22, s25
	s_add_u32 s27, s27, s30
	s_addc_u32 s26, s28, s26
	s_mul_i32 s25, s22, s25
	s_addc_u32 s27, s29, 0
	s_add_u32 s25, s26, s25
	s_addc_u32 s26, 0, s27
	s_add_u32 s0, s0, s25
	s_cselect_b32 s25, -1, 0
	s_mul_i32 s24, s24, s0
	s_cmp_lg_u32 s25, 0
	s_addc_u32 s22, s22, s26
	s_mul_hi_u32 s26, s23, s0
	s_mul_i32 s25, s23, s22
	s_mul_i32 s23, s23, s0
	s_add_i32 s25, s26, s25
	s_mul_hi_u32 s26, s22, s23
	s_add_i32 s25, s25, s24
	s_mul_i32 s27, s22, s23
	s_mul_i32 s28, s0, s25
	s_mul_hi_u32 s23, s0, s23
	s_mul_hi_u32 s29, s0, s25
	s_add_u32 s23, s23, s28
	s_addc_u32 s28, 0, s29
	s_mul_hi_u32 s24, s22, s25
	s_add_u32 s23, s23, s27
	s_addc_u32 s23, s28, s26
	s_mul_i32 s25, s22, s25
	s_addc_u32 s24, s24, 0
	s_add_u32 s23, s23, s25
	s_addc_u32 s24, 0, s24
	s_add_u32 s0, s0, s23
	s_cselect_b32 s23, -1, 0
	v_mul_hi_u32 v9, v0, s0
	s_cmp_lg_u32 s23, 0
	v_mad_u64_u32 v[7:8], null, v1, s0, 0
	s_addc_u32 s22, s22, s24
	v_mad_u64_u32 v[5:6], null, v0, s22, 0
	v_add_co_u32 v9, vcc_lo, v9, v5
	v_add_co_ci_u32_e64 v10, null, 0, v6, vcc_lo
	v_mad_u64_u32 v[5:6], null, v1, s22, 0
	v_add_co_u32 v7, vcc_lo, v9, v7
	v_add_co_ci_u32_e32 v7, vcc_lo, v10, v8, vcc_lo
	v_add_co_ci_u32_e32 v6, vcc_lo, 0, v6, vcc_lo
	v_add_co_u32 v7, vcc_lo, v7, v5
	v_add_co_ci_u32_e64 v8, null, 0, v6, vcc_lo
	v_mul_lo_u32 v9, s3, v7
	v_mad_u64_u32 v[5:6], null, s2, v7, 0
	v_mul_lo_u32 v10, s2, v8
	v_sub_co_u32 v5, vcc_lo, v0, v5
	v_add3_u32 v6, v6, v10, v9
	v_add_co_u32 v10, s0, v7, 2
	v_add_co_ci_u32_e64 v14, null, 0, v8, s0
	v_sub_nc_u32_e32 v9, v1, v6
	v_sub_co_u32 v15, s0, v5, s2
	v_sub_co_ci_u32_e64 v6, null, v1, v6, vcc_lo
	v_subrev_co_ci_u32_e64 v9, null, s3, v9, vcc_lo
	v_cmp_le_u32_e32 vcc_lo, s2, v15
	v_subrev_co_ci_u32_e64 v9, null, 0, v9, s0
	v_cndmask_b32_e64 v15, 0, -1, vcc_lo
	v_cmp_eq_u32_e64 s0, s3, v6
	v_cmp_le_u32_e32 vcc_lo, s3, v9
	v_cndmask_b32_e64 v16, 0, -1, vcc_lo
	v_cmp_le_u32_e32 vcc_lo, s2, v5
	v_cndmask_b32_e64 v5, 0, -1, vcc_lo
	;; [unrolled: 2-line block ×3, first 2 shown]
	v_cmp_eq_u32_e32 vcc_lo, s3, v9
	v_cndmask_b32_e64 v5, v17, v5, s0
	v_cndmask_b32_e32 v9, v16, v15, vcc_lo
	v_add_co_u32 v15, vcc_lo, v7, 1
	v_add_co_ci_u32_e64 v16, null, 0, v8, vcc_lo
	v_cmp_ne_u32_e32 vcc_lo, 0, v9
	v_cndmask_b32_e32 v6, v16, v14, vcc_lo
	v_cndmask_b32_e32 v9, v15, v10, vcc_lo
	v_cmp_ne_u32_e32 vcc_lo, 0, v5
	v_cndmask_b32_e32 v6, v8, v6, vcc_lo
	v_cndmask_b32_e32 v5, v7, v9, vcc_lo
.LBB24_5:                               ;   in Loop: Header=BB24_3 Depth=1
	s_andn2_saveexec_b32 s0, s21
	s_cbranch_execz .LBB24_7
; %bb.6:                                ;   in Loop: Header=BB24_3 Depth=1
	v_mul_hi_u32 v5, v0, v13
	v_mul_lo_u32 v6, v5, s2
	v_add_nc_u32_e32 v7, 1, v5
	v_sub_nc_u32_e32 v6, v0, v6
	v_subrev_nc_u32_e32 v8, s2, v6
	v_cmp_le_u32_e32 vcc_lo, s2, v6
	v_cndmask_b32_e32 v6, v6, v8, vcc_lo
	v_cndmask_b32_e32 v5, v5, v7, vcc_lo
	v_cmp_le_u32_e32 vcc_lo, s2, v6
	v_add_nc_u32_e32 v7, 1, v5
	v_mov_b32_e32 v6, v4
	v_cndmask_b32_e32 v5, v5, v7, vcc_lo
.LBB24_7:                               ;   in Loop: Header=BB24_3 Depth=1
	s_or_b32 exec_lo, exec_lo, s0
	v_mul_lo_u32 v9, v6, s2
	v_mul_lo_u32 v10, v5, s3
	v_mad_u64_u32 v[7:8], null, v5, s2, 0
	s_cmpk_lt_i32 s10, 0x7a
	v_add3_u32 v8, v8, v10, v9
	v_sub_co_u32 v7, vcc_lo, v0, v7
	v_sub_co_ci_u32_e64 v8, null, v1, v8, vcc_lo
	s_cbranch_scc1 .LBB24_10
; %bb.8:                                ;   in Loop: Header=BB24_3 Depth=1
	s_mov_b32 s0, 0
	s_cmpk_eq_i32 s10, 0x7a
	s_mov_b32 s21, 0
                                        ; implicit-def: $vgpr9_vgpr10
	s_cbranch_scc0 .LBB24_11
; %bb.9:                                ;   in Loop: Header=BB24_3 Depth=1
	v_lshlrev_b64 v[9:10], 3, v[7:8]
	s_mov_b32 s21, -1
	v_sub_co_u32 v14, vcc_lo, s17, v9
	v_sub_co_ci_u32_e64 v9, null, s18, v10, vcc_lo
	v_cvt_f64_u32_e32 v[14:15], v14
	v_cvt_f64_u32_e32 v[9:10], v9
	v_ldexp_f64 v[9:10], v[9:10], 32
	v_add_f64 v[9:10], v[9:10], v[14:15]
	v_cmp_gt_f64_e32 vcc_lo, 0x10000000, v[9:10]
	v_cndmask_b32_e64 v14, 0, 0x100, vcc_lo
	v_ldexp_f64 v[9:10], v[9:10], v14
	v_rsq_f64_e32 v[14:15], v[9:10]
	v_mul_f64 v[16:17], v[9:10], v[14:15]
	v_mul_f64 v[14:15], v[14:15], 0.5
	v_fma_f64 v[18:19], -v[14:15], v[16:17], 0.5
	v_fma_f64 v[16:17], v[16:17], v[18:19], v[16:17]
	v_fma_f64 v[14:15], v[14:15], v[18:19], v[14:15]
	v_fma_f64 v[18:19], -v[16:17], v[16:17], v[9:10]
	v_fma_f64 v[16:17], v[18:19], v[14:15], v[16:17]
	v_fma_f64 v[18:19], -v[16:17], v[16:17], v[9:10]
	v_fma_f64 v[14:15], v[18:19], v[14:15], v[16:17]
	v_cndmask_b32_e64 v16, 0, 0xffffff80, vcc_lo
	v_cmp_class_f64_e64 vcc_lo, v[9:10], 0x260
	v_mul_lo_u32 v17, v5, s9
	v_ldexp_f64 v[14:15], v[14:15], v16
	v_mul_lo_u32 v16, v6, s8
	v_cndmask_b32_e32 v10, v15, v10, vcc_lo
	v_cndmask_b32_e32 v9, v14, v9, vcc_lo
	v_fma_f64 v[9:10], v[9:10], 0.5, -0.5
	v_floor_f64_e32 v[9:10], v[9:10]
	v_add_f64 v[9:10], v[2:3], -v[9:10]
	v_trunc_f64_e32 v[9:10], v[9:10]
	v_ldexp_f64 v[14:15], v[9:10], 0xffffffe0
	v_floor_f64_e32 v[14:15], v[14:15]
	v_fma_f64 v[9:10], 0xc1f00000, v[14:15], v[9:10]
	v_cvt_u32_f64_e32 v15, v[14:15]
	v_cvt_u32_f64_e32 v14, v[9:10]
	v_mad_u64_u32 v[9:10], null, v5, s8, 0
	v_mul_lo_u32 v20, v15, s14
	v_add3_u32 v10, v10, v17, v16
	v_lshlrev_b64 v[9:10], 3, v[9:10]
	v_sub_co_u32 v21, vcc_lo, s11, v14
	v_sub_co_ci_u32_e64 v22, null, s16, v15, vcc_lo
	v_mul_lo_u32 v23, v14, s15
	v_mad_u64_u32 v[16:17], null, v14, s14, 0
	v_add_co_u32 v24, vcc_lo, v21, -1
	v_add_co_ci_u32_e64 v25, null, -1, v22, vcc_lo
	v_sub_co_u32 v18, vcc_lo, v7, s4
	v_add3_u32 v17, v17, v23, v20
	v_mul_lo_u32 v23, v25, v21
	v_mul_lo_u32 v22, v24, v22
	v_mad_u64_u32 v[20:21], null, v24, v21, 0
	v_subrev_co_ci_u32_e64 v19, null, s5, v8, vcc_lo
	v_lshlrev_b64 v[16:17], 3, v[16:17]
	v_add_co_u32 v9, vcc_lo, s1, v9
	v_add_co_ci_u32_e64 v10, null, s6, v10, vcc_lo
	v_lshlrev_b64 v[18:19], 3, v[18:19]
	v_add3_u32 v21, v21, v22, v23
	v_add_co_u32 v16, vcc_lo, v9, v16
	v_add_co_ci_u32_e64 v17, null, v10, v17, vcc_lo
	v_lshlrev_b64 v[9:10], 2, v[20:21]
	v_lshlrev_b64 v[14:15], 3, v[14:15]
	v_add_co_u32 v16, vcc_lo, v16, v18
	v_add_co_ci_u32_e64 v17, null, v17, v19, vcc_lo
	v_and_b32_e32 v9, -8, v9
	v_add_co_u32 v14, vcc_lo, v16, v14
	v_add_co_ci_u32_e64 v15, null, v17, v15, vcc_lo
	v_add_co_u32 v14, vcc_lo, v14, v9
	v_add_co_ci_u32_e64 v15, null, v15, v10, vcc_lo
	;; [unrolled: 2-line block ×3, first 2 shown]
	flat_store_dword v[14:15], v4 offset:8
	s_branch .LBB24_11
.LBB24_10:                              ;   in Loop: Header=BB24_3 Depth=1
	s_mov_b32 s0, -1
	s_mov_b32 s21, 0
                                        ; implicit-def: $vgpr9_vgpr10
.LBB24_11:                              ;   in Loop: Header=BB24_3 Depth=1
	s_and_b32 vcc_lo, exec_lo, s0
	s_cbranch_vccz .LBB24_14
; %bb.12:                               ;   in Loop: Header=BB24_3 Depth=1
	s_cmpk_eq_i32 s10, 0x79
                                        ; implicit-def: $vgpr9_vgpr10
	s_cbranch_scc0 .LBB24_14
; %bb.13:                               ;   in Loop: Header=BB24_3 Depth=1
	v_lshlrev_b64 v[9:10], 3, v[7:8]
	s_mov_b32 s21, -1
	v_cvt_f64_u32_e32 v[14:15], v10
	v_or_b32_e32 v9, 1, v9
	v_cvt_f64_u32_e32 v[9:10], v9
	v_ldexp_f64 v[14:15], v[14:15], 32
	v_add_f64 v[9:10], v[14:15], v[9:10]
	v_cmp_gt_f64_e32 vcc_lo, 0x10000000, v[9:10]
	v_cndmask_b32_e64 v14, 0, 0x100, vcc_lo
	v_ldexp_f64 v[9:10], v[9:10], v14
	v_rsq_f64_e32 v[14:15], v[9:10]
	v_mul_f64 v[16:17], v[9:10], v[14:15]
	v_mul_f64 v[14:15], v[14:15], 0.5
	v_fma_f64 v[18:19], -v[14:15], v[16:17], 0.5
	v_fma_f64 v[16:17], v[16:17], v[18:19], v[16:17]
	v_fma_f64 v[14:15], v[14:15], v[18:19], v[14:15]
	v_fma_f64 v[18:19], -v[16:17], v[16:17], v[9:10]
	v_fma_f64 v[16:17], v[18:19], v[14:15], v[16:17]
	v_fma_f64 v[18:19], -v[16:17], v[16:17], v[9:10]
	v_fma_f64 v[14:15], v[18:19], v[14:15], v[16:17]
	v_cndmask_b32_e64 v16, 0, 0xffffff80, vcc_lo
	v_cmp_class_f64_e64 vcc_lo, v[9:10], 0x260
	v_mul_lo_u32 v17, v5, s9
	v_ldexp_f64 v[14:15], v[14:15], v16
	v_mul_lo_u32 v16, v6, s8
	v_mad_u64_u32 v[5:6], null, v5, s8, 0
	v_add3_u32 v6, v6, v17, v16
	v_lshlrev_b64 v[5:6], 3, v[5:6]
	v_cndmask_b32_e32 v10, v15, v10, vcc_lo
	v_cndmask_b32_e32 v9, v14, v9, vcc_lo
	v_add_f64 v[9:10], v[9:10], -1.0
	v_mul_f64 v[9:10], v[9:10], 0.5
	v_trunc_f64_e32 v[9:10], v[9:10]
	v_ldexp_f64 v[14:15], v[9:10], 0xffffffe0
	v_floor_f64_e32 v[14:15], v[14:15]
	v_fma_f64 v[9:10], 0xc1f00000, v[14:15], v[9:10]
	v_cvt_u32_f64_e32 v15, v[14:15]
	v_cvt_u32_f64_e32 v14, v[9:10]
	v_mul_lo_u32 v19, s14, v15
	v_mad_u64_u32 v[9:10], null, v14, v14, v[14:15]
	v_mul_lo_u32 v18, v14, v15
	v_mul_lo_u32 v20, s15, v14
	v_mad_u64_u32 v[14:15], null, s14, v14, s[14:15]
	v_add3_u32 v10, v18, v10, v18
	v_add3_u32 v15, v20, v15, v19
	v_lshrrev_b64 v[9:10], 1, v[9:10]
	v_lshlrev_b64 v[14:15], 3, v[14:15]
	v_sub_co_u32 v7, vcc_lo, v7, v9
	v_sub_co_ci_u32_e64 v8, null, v8, v10, vcc_lo
	v_add_co_u32 v9, vcc_lo, s1, v5
	v_add_co_ci_u32_e64 v10, null, s6, v6, vcc_lo
	v_lshlrev_b64 v[5:6], 3, v[7:8]
	v_add_co_u32 v7, vcc_lo, v9, v14
	v_add_co_ci_u32_e64 v8, null, v10, v15, vcc_lo
	v_add_co_u32 v9, vcc_lo, v7, v5
	v_add_co_ci_u32_e64 v10, null, v8, v6, vcc_lo
	flat_store_dword v[9:10], v4
.LBB24_14:                              ;   in Loop: Header=BB24_3 Depth=1
	s_and_b32 vcc_lo, exec_lo, s21
	s_cbranch_vccz .LBB24_2
; %bb.15:                               ;   in Loop: Header=BB24_3 Depth=1
	flat_store_dword v[9:10], v4 offset:4
	s_branch .LBB24_2
.LBB24_16:
	s_endpgm
	.section	.rodata,"a",@progbits
	.p2align	6, 0x0
	.amdhsa_kernel _ZL18rocblas_trtri_fillILi128E19rocblas_complex_numIfEPKPS1_EvP15_rocblas_handle13rocblas_fill_ililT1_llii
		.amdhsa_group_segment_fixed_size 0
		.amdhsa_private_segment_fixed_size 0
		.amdhsa_kernarg_size 328
		.amdhsa_user_sgpr_count 6
		.amdhsa_user_sgpr_private_segment_buffer 1
		.amdhsa_user_sgpr_dispatch_ptr 0
		.amdhsa_user_sgpr_queue_ptr 0
		.amdhsa_user_sgpr_kernarg_segment_ptr 1
		.amdhsa_user_sgpr_dispatch_id 0
		.amdhsa_user_sgpr_flat_scratch_init 0
		.amdhsa_user_sgpr_private_segment_size 0
		.amdhsa_wavefront_size32 1
		.amdhsa_uses_dynamic_stack 0
		.amdhsa_system_sgpr_private_segment_wavefront_offset 0
		.amdhsa_system_sgpr_workgroup_id_x 1
		.amdhsa_system_sgpr_workgroup_id_y 0
		.amdhsa_system_sgpr_workgroup_id_z 1
		.amdhsa_system_sgpr_workgroup_info 0
		.amdhsa_system_vgpr_workitem_id 0
		.amdhsa_next_free_vgpr 26
		.amdhsa_next_free_sgpr 31
		.amdhsa_reserve_vcc 1
		.amdhsa_reserve_flat_scratch 0
		.amdhsa_float_round_mode_32 0
		.amdhsa_float_round_mode_16_64 0
		.amdhsa_float_denorm_mode_32 3
		.amdhsa_float_denorm_mode_16_64 3
		.amdhsa_dx10_clamp 1
		.amdhsa_ieee_mode 1
		.amdhsa_fp16_overflow 0
		.amdhsa_workgroup_processor_mode 1
		.amdhsa_memory_ordered 1
		.amdhsa_forward_progress 1
		.amdhsa_shared_vgpr_count 0
		.amdhsa_exception_fp_ieee_invalid_op 0
		.amdhsa_exception_fp_denorm_src 0
		.amdhsa_exception_fp_ieee_div_zero 0
		.amdhsa_exception_fp_ieee_overflow 0
		.amdhsa_exception_fp_ieee_underflow 0
		.amdhsa_exception_fp_ieee_inexact 0
		.amdhsa_exception_int_div_zero 0
	.end_amdhsa_kernel
	.section	.text._ZL18rocblas_trtri_fillILi128E19rocblas_complex_numIfEPKPS1_EvP15_rocblas_handle13rocblas_fill_ililT1_llii,"axG",@progbits,_ZL18rocblas_trtri_fillILi128E19rocblas_complex_numIfEPKPS1_EvP15_rocblas_handle13rocblas_fill_ililT1_llii,comdat
.Lfunc_end24:
	.size	_ZL18rocblas_trtri_fillILi128E19rocblas_complex_numIfEPKPS1_EvP15_rocblas_handle13rocblas_fill_ililT1_llii, .Lfunc_end24-_ZL18rocblas_trtri_fillILi128E19rocblas_complex_numIfEPKPS1_EvP15_rocblas_handle13rocblas_fill_ililT1_llii
                                        ; -- End function
	.set _ZL18rocblas_trtri_fillILi128E19rocblas_complex_numIfEPKPS1_EvP15_rocblas_handle13rocblas_fill_ililT1_llii.num_vgpr, 26
	.set _ZL18rocblas_trtri_fillILi128E19rocblas_complex_numIfEPKPS1_EvP15_rocblas_handle13rocblas_fill_ililT1_llii.num_agpr, 0
	.set _ZL18rocblas_trtri_fillILi128E19rocblas_complex_numIfEPKPS1_EvP15_rocblas_handle13rocblas_fill_ililT1_llii.numbered_sgpr, 31
	.set _ZL18rocblas_trtri_fillILi128E19rocblas_complex_numIfEPKPS1_EvP15_rocblas_handle13rocblas_fill_ililT1_llii.num_named_barrier, 0
	.set _ZL18rocblas_trtri_fillILi128E19rocblas_complex_numIfEPKPS1_EvP15_rocblas_handle13rocblas_fill_ililT1_llii.private_seg_size, 0
	.set _ZL18rocblas_trtri_fillILi128E19rocblas_complex_numIfEPKPS1_EvP15_rocblas_handle13rocblas_fill_ililT1_llii.uses_vcc, 1
	.set _ZL18rocblas_trtri_fillILi128E19rocblas_complex_numIfEPKPS1_EvP15_rocblas_handle13rocblas_fill_ililT1_llii.uses_flat_scratch, 0
	.set _ZL18rocblas_trtri_fillILi128E19rocblas_complex_numIfEPKPS1_EvP15_rocblas_handle13rocblas_fill_ililT1_llii.has_dyn_sized_stack, 0
	.set _ZL18rocblas_trtri_fillILi128E19rocblas_complex_numIfEPKPS1_EvP15_rocblas_handle13rocblas_fill_ililT1_llii.has_recursion, 0
	.set _ZL18rocblas_trtri_fillILi128E19rocblas_complex_numIfEPKPS1_EvP15_rocblas_handle13rocblas_fill_ililT1_llii.has_indirect_call, 0
	.section	.AMDGPU.csdata,"",@progbits
; Kernel info:
; codeLenInByte = 2072
; TotalNumSgprs: 33
; NumVgprs: 26
; ScratchSize: 0
; MemoryBound: 0
; FloatMode: 240
; IeeeMode: 1
; LDSByteSize: 0 bytes/workgroup (compile time only)
; SGPRBlocks: 0
; VGPRBlocks: 3
; NumSGPRsForWavesPerEU: 33
; NumVGPRsForWavesPerEU: 26
; Occupancy: 16
; WaveLimiterHint : 1
; COMPUTE_PGM_RSRC2:SCRATCH_EN: 0
; COMPUTE_PGM_RSRC2:USER_SGPR: 6
; COMPUTE_PGM_RSRC2:TRAP_HANDLER: 0
; COMPUTE_PGM_RSRC2:TGID_X_EN: 1
; COMPUTE_PGM_RSRC2:TGID_Y_EN: 0
; COMPUTE_PGM_RSRC2:TGID_Z_EN: 1
; COMPUTE_PGM_RSRC2:TIDIG_COMP_CNT: 0
	.section	.text._ZL26rocblas_trtri_small_kernelILi16E19rocblas_complex_numIfEPKPKS1_PKPS1_Ev13rocblas_fill_17rocblas_diagonal_iT1_lillT2_lilli,"axG",@progbits,_ZL26rocblas_trtri_small_kernelILi16E19rocblas_complex_numIfEPKPKS1_PKPS1_Ev13rocblas_fill_17rocblas_diagonal_iT1_lillT2_lilli,comdat
	.globl	_ZL26rocblas_trtri_small_kernelILi16E19rocblas_complex_numIfEPKPKS1_PKPS1_Ev13rocblas_fill_17rocblas_diagonal_iT1_lillT2_lilli ; -- Begin function _ZL26rocblas_trtri_small_kernelILi16E19rocblas_complex_numIfEPKPKS1_PKPS1_Ev13rocblas_fill_17rocblas_diagonal_iT1_lillT2_lilli
	.p2align	8
	.type	_ZL26rocblas_trtri_small_kernelILi16E19rocblas_complex_numIfEPKPKS1_PKPS1_Ev13rocblas_fill_17rocblas_diagonal_iT1_lillT2_lilli,@function
_ZL26rocblas_trtri_small_kernelILi16E19rocblas_complex_numIfEPKPKS1_PKPS1_Ev13rocblas_fill_17rocblas_diagonal_iT1_lillT2_lilli: ; @_ZL26rocblas_trtri_small_kernelILi16E19rocblas_complex_numIfEPKPKS1_PKPS1_Ev13rocblas_fill_17rocblas_diagonal_iT1_lillT2_lilli
; %bb.0:
	s_load_dwordx4 s[8:11], s[4:5], 0x0
	s_waitcnt lgkmcnt(0)
	s_cmp_lt_i32 s10, 1
	s_cbranch_scc1 .LBB25_43
; %bb.1:
	s_clause 0x1
	s_load_dwordx4 s[16:19], s[4:5], 0x30
	s_load_dwordx2 s[20:21], s[4:5], 0x40
	s_mov_b32 s0, s7
	s_mov_b32 s1, 0
	s_lshl_b64 s[2:3], s[0:1], 3
	s_waitcnt lgkmcnt(0)
	s_add_u32 s0, s18, s2
	s_addc_u32 s1, s19, s3
	s_load_dwordx2 s[18:19], s[0:1], 0x0
	v_cmp_le_u32_e64 s1, s10, v0
	v_cmp_gt_u32_e64 s0, s10, v0
	s_and_saveexec_b32 s7, s0
	s_cbranch_execz .LBB25_9
; %bb.2:
	s_clause 0x1
	s_load_dwordx4 s[12:15], s[4:5], 0x10
	s_load_dword s22, s[4:5], 0x20
	s_waitcnt lgkmcnt(0)
	s_add_u32 s2, s12, s2
	s_addc_u32 s3, s13, s3
	s_load_dwordx2 s[12:13], s[2:3], 0x0
	s_mul_i32 s2, s17, s6
	s_mul_hi_u32 s3, s16, s6
	s_mul_i32 s16, s16, s6
	s_add_i32 s17, s3, s2
	s_cmpk_lg_i32 s8, 0x7a
	s_mov_b32 s2, -1
	s_cbranch_scc0 .LBB25_6
; %bb.3:
	s_add_i32 s2, s10, -1
	s_ashr_i32 s23, s22, 31
	s_mul_hi_u32 s11, s22, s2
	s_mul_i32 s3, s23, s2
	v_sub_nc_u32_e32 v1, s2, v0
	s_add_i32 s3, s11, s3
	s_mul_i32 s2, s22, s2
	s_lshl_b64 s[24:25], s[16:17], 3
	s_lshl_b64 s[26:27], s[2:3], 3
	s_lshl_b32 s3, s10, 3
	s_add_u32 s2, s24, s26
	s_addc_u32 s11, s25, s27
	s_lshl_b64 s[24:25], s[14:15], 3
	v_lshlrev_b32_e32 v3, 3, v1
	v_lshlrev_b32_e32 v1, 3, v0
	s_add_u32 s2, s2, s24
	s_addc_u32 s11, s11, s25
	s_waitcnt lgkmcnt(0)
	s_add_u32 s2, s12, s2
	s_addc_u32 s11, s13, s11
	v_add_co_u32 v1, s2, s2, v1
	s_lshl_b64 s[24:25], s[22:23], 3
	v_add_co_ci_u32_e64 v2, null, s11, 0, s2
	s_sub_u32 s11, 0, s24
	s_subb_u32 s24, 0, s25
	s_mov_b32 s23, 0
	s_mov_b32 s25, s10
.LBB25_4:                               ; =>This Inner Loop Header: Depth=1
	flat_load_dwordx2 v[4:5], v[1:2]
	s_add_i32 s25, s25, -1
	v_add_co_u32 v1, vcc_lo, v1, s11
	v_cmp_le_u32_e64 s2, s25, v0
	v_add_co_ci_u32_e64 v2, null, s24, v2, vcc_lo
	s_or_b32 s23, s2, s23
	s_waitcnt vmcnt(0) lgkmcnt(0)
	ds_write_b64 v3, v[4:5]
	v_add_nc_u32_e32 v3, s3, v3
	s_andn2_b32 exec_lo, exec_lo, s23
	s_cbranch_execnz .LBB25_4
; %bb.5:
	s_or_b32 exec_lo, exec_lo, s23
	s_mov_b32 s2, 0
.LBB25_6:
	s_and_b32 vcc_lo, exec_lo, s2
	s_cbranch_vccz .LBB25_9
; %bb.7:
	s_lshl_b64 s[2:3], s[14:15], 3
	v_lshlrev_b32_e32 v3, 3, v0
	s_waitcnt lgkmcnt(0)
	s_add_u32 s11, s12, s2
	s_addc_u32 s12, s13, s3
	s_lshl_b64 s[2:3], s[16:17], 3
	v_add_nc_u32_e32 v4, 1, v0
	s_add_u32 s2, s11, s2
	s_addc_u32 s3, s12, s3
	v_add_co_u32 v1, s2, s2, v3
	v_add_co_ci_u32_e64 v2, null, s3, 0, s2
	s_ashr_i32 s23, s22, 31
	s_lshl_b32 s3, s10, 3
	s_lshl_b64 s[12:13], s[22:23], 3
	s_mov_b32 s11, 0
.LBB25_8:                               ; =>This Inner Loop Header: Depth=1
	flat_load_dwordx2 v[5:6], v[1:2]
	v_add_nc_u32_e32 v4, -1, v4
	v_add_co_u32 v1, vcc_lo, v1, s12
	v_add_co_ci_u32_e64 v2, null, s13, v2, vcc_lo
	v_cmp_eq_u32_e64 s2, 0, v4
	s_or_b32 s11, s2, s11
	s_waitcnt vmcnt(0) lgkmcnt(0)
	ds_write_b64 v3, v[5:6]
	v_add_nc_u32_e32 v3, s3, v3
	s_andn2_b32 exec_lo, exec_lo, s11
	s_cbranch_execnz .LBB25_8
.LBB25_9:
	s_or_b32 exec_lo, exec_lo, s7
	s_waitcnt lgkmcnt(0)
	; wave barrier
	buffer_gl0_inv
                                        ; implicit-def: $vgpr1
	s_and_saveexec_b32 s2, s1
	s_xor_b32 s1, exec_lo, s2
; %bb.10:
	v_mad_u64_u32 v[1:2], null, v0, s10, v[0:1]
; %bb.11:
	s_andn2_saveexec_b32 s2, s1
	s_cbranch_execz .LBB25_24
; %bb.12:
	v_mad_u64_u32 v[1:2], null, v0, s10, v[0:1]
	s_cmpk_lg_i32 s9, 0x84
	s_mov_b32 s1, -1
	v_lshlrev_b32_e32 v6, 3, v1
	s_cbranch_scc0 .LBB25_22
; %bb.13:
	ds_read_b64 v[2:3], v6
	s_waitcnt lgkmcnt(0)
	v_cmp_neq_f32_e32 vcc_lo, 0, v2
	v_cmp_neq_f32_e64 s1, 0, v3
	s_or_b32 s1, vcc_lo, s1
	s_and_saveexec_b32 s3, s1
	s_xor_b32 s1, exec_lo, s3
	s_cbranch_execz .LBB25_19
; %bb.14:
	v_cmp_ngt_f32_e64 s3, |v2|, |v3|
                                        ; implicit-def: $vgpr4
	s_and_saveexec_b32 s7, s3
	s_xor_b32 s3, exec_lo, s7
	s_cbranch_execz .LBB25_16
; %bb.15:
	v_div_scale_f32 v4, null, v3, v3, v2
	v_div_scale_f32 v8, vcc_lo, v2, v3, v2
	v_rcp_f32_e32 v5, v4
	v_fma_f32 v7, -v4, v5, 1.0
	v_fmac_f32_e32 v5, v7, v5
	v_mul_f32_e32 v7, v8, v5
	v_fma_f32 v9, -v4, v7, v8
	v_fmac_f32_e32 v7, v9, v5
	v_fma_f32 v4, -v4, v7, v8
	v_div_fmas_f32 v4, v4, v5, v7
	v_div_fixup_f32 v4, v4, v3, v2
	v_fmac_f32_e32 v3, v2, v4
	v_div_scale_f32 v2, null, v3, v3, 1.0
	v_div_scale_f32 v8, vcc_lo, 1.0, v3, 1.0
	v_rcp_f32_e32 v5, v2
	v_fma_f32 v7, -v2, v5, 1.0
	v_fmac_f32_e32 v5, v7, v5
	v_mul_f32_e32 v7, v8, v5
	v_fma_f32 v9, -v2, v7, v8
	v_fmac_f32_e32 v7, v9, v5
	v_fma_f32 v2, -v2, v7, v8
	v_div_fmas_f32 v2, v2, v5, v7
	v_div_fixup_f32 v2, v2, v3, 1.0
	v_mul_f32_e32 v4, v4, v2
	v_xor_b32_e32 v5, 0x80000000, v2
                                        ; implicit-def: $vgpr2_vgpr3
.LBB25_16:
	s_andn2_saveexec_b32 s3, s3
	s_cbranch_execz .LBB25_18
; %bb.17:
	v_div_scale_f32 v4, null, v2, v2, v3
	v_div_scale_f32 v8, vcc_lo, v3, v2, v3
	v_rcp_f32_e32 v5, v4
	v_fma_f32 v7, -v4, v5, 1.0
	v_fmac_f32_e32 v5, v7, v5
	v_mul_f32_e32 v7, v8, v5
	v_fma_f32 v9, -v4, v7, v8
	v_fmac_f32_e32 v7, v9, v5
	v_fma_f32 v4, -v4, v7, v8
	v_div_fmas_f32 v4, v4, v5, v7
	v_div_fixup_f32 v5, v4, v2, v3
	v_fmac_f32_e32 v2, v3, v5
	v_div_scale_f32 v3, null, v2, v2, 1.0
	v_rcp_f32_e32 v4, v3
	v_fma_f32 v7, -v3, v4, 1.0
	v_fmac_f32_e32 v4, v7, v4
	v_div_scale_f32 v7, vcc_lo, 1.0, v2, 1.0
	v_mul_f32_e32 v8, v7, v4
	v_fma_f32 v9, -v3, v8, v7
	v_fmac_f32_e32 v8, v9, v4
	v_fma_f32 v3, -v3, v8, v7
	v_div_fmas_f32 v3, v3, v4, v8
	v_div_fixup_f32 v4, v3, v2, 1.0
	v_mul_f32_e64 v5, v5, -v4
.LBB25_18:
	s_or_b32 exec_lo, exec_lo, s3
	ds_write_b64 v6, v[4:5]
.LBB25_19:
	s_andn2_saveexec_b32 s1, s1
; %bb.20:
	v_mov_b32_e32 v2, 1.0
	v_mov_b32_e32 v3, 0
	ds_write_b64 v6, v[2:3]
; %bb.21:
	s_or_b32 exec_lo, exec_lo, s1
	s_mov_b32 s1, 0
.LBB25_22:
	s_andn2_b32 vcc_lo, exec_lo, s1
	s_cbranch_vccnz .LBB25_24
; %bb.23:
	v_mov_b32_e32 v2, 1.0
	v_mov_b32_e32 v3, 0
	ds_write_b64 v6, v[2:3]
.LBB25_24:
	s_or_b32 exec_lo, exec_lo, s2
	v_lshlrev_b32_e32 v3, 3, v0
	s_lshl_b32 s1, s10, 3
	v_lshlrev_b32_e32 v1, 3, v1
	s_mov_b32 s2, 8
	s_add_i32 s3, s1, 8
	v_add_nc_u32_e32 v2, s1, v3
	s_mov_b32 s7, 0
	s_waitcnt lgkmcnt(0)
	; wave barrier
	buffer_gl0_inv
	s_branch .LBB25_26
.LBB25_25:                              ;   in Loop: Header=BB25_26 Depth=1
	s_inst_prefetch 0x2
	v_add_nc_u32_e32 v2, s1, v2
	s_add_i32 s2, s2, s3
	s_cmp_eq_u32 s7, s10
	; wave barrier
	buffer_gl0_inv
	s_cbranch_scc1 .LBB25_35
.LBB25_26:                              ; =>This Loop Header: Depth=1
                                        ;     Child Loop BB25_31 Depth 2
	v_mov_b32_e32 v4, 0
	v_mov_b32_e32 v5, 0
	s_mul_i32 s9, s7, s10
	s_mov_b32 s11, exec_lo
	v_cmpx_lt_u32_e64 s7, v0
	s_cbranch_execz .LBB25_28
; %bb.27:                               ;   in Loop: Header=BB25_26 Depth=1
	s_lshl_b32 s12, s9, 3
	s_lshl_b32 s13, s7, 3
	v_add_nc_u32_e32 v4, s12, v3
	s_add_i32 s13, s13, s12
	v_mov_b32_e32 v6, s13
	ds_read_b64 v[4:5], v4
	ds_read_b64 v[6:7], v6
	s_waitcnt lgkmcnt(0)
	v_mul_f32_e32 v8, v7, v5
	v_mul_f32_e32 v5, v6, v5
	v_fma_f32 v6, v6, v4, -v8
	v_fmac_f32_e32 v5, v7, v4
	v_add_f32_e32 v4, 0, v6
	v_add_f32_e32 v5, 0, v5
.LBB25_28:                              ;   in Loop: Header=BB25_26 Depth=1
	s_or_b32 exec_lo, exec_lo, s11
	s_add_i32 s7, s7, 1
	s_cmp_ge_i32 s7, s10
	; wave barrier
	buffer_gl0_inv
	s_cbranch_scc1 .LBB25_25
; %bb.29:                               ;   in Loop: Header=BB25_26 Depth=1
	v_lshl_add_u32 v6, s9, 3, v3
	v_mov_b32_e32 v7, v2
	s_mov_b32 s9, s2
	s_mov_b32 s11, s7
	s_inst_prefetch 0x1
	s_branch .LBB25_31
	.p2align	6
.LBB25_30:                              ;   in Loop: Header=BB25_31 Depth=2
	s_or_b32 exec_lo, exec_lo, s12
	v_add_nc_u32_e32 v7, s1, v7
	s_add_i32 s11, s11, 1
	s_add_i32 s9, s9, 8
	s_cmp_eq_u32 s10, s11
	; wave barrier
	buffer_gl0_inv
	s_cbranch_scc1 .LBB25_25
.LBB25_31:                              ;   Parent Loop BB25_26 Depth=1
                                        ; =>  This Inner Loop Header: Depth=2
	s_mov_b32 s12, exec_lo
	v_cmpx_eq_u32_e64 s11, v0
	s_cbranch_execz .LBB25_33
; %bb.32:                               ;   in Loop: Header=BB25_31 Depth=2
	ds_read_b64 v[8:9], v1
	v_sub_f32_e32 v11, 0, v4
	s_waitcnt lgkmcnt(0)
	v_mul_f32_e32 v10, v5, v9
	v_mul_f32_e32 v12, v5, v8
	v_fmac_f32_e32 v10, v11, v8
	v_fma_f32 v11, -v4, v9, -v12
	ds_write_b64 v6, v[10:11]
.LBB25_33:                              ;   in Loop: Header=BB25_31 Depth=2
	s_or_b32 exec_lo, exec_lo, s12
	s_mov_b32 s12, exec_lo
	s_waitcnt lgkmcnt(0)
	; wave barrier
	buffer_gl0_inv
	v_cmpx_lt_u32_e64 s11, v0
	s_cbranch_execz .LBB25_30
; %bb.34:                               ;   in Loop: Header=BB25_31 Depth=2
	v_mov_b32_e32 v10, s9
	ds_read_b64 v[8:9], v7
	ds_read_b64 v[10:11], v10
	s_waitcnt lgkmcnt(0)
	v_mul_f32_e32 v12, v11, v9
	v_mul_f32_e32 v9, v10, v9
	v_fma_f32 v10, v10, v8, -v12
	v_fmac_f32_e32 v9, v11, v8
	v_add_f32_e32 v4, v4, v10
	v_add_f32_e32 v5, v5, v9
	s_branch .LBB25_30
.LBB25_35:
	s_and_saveexec_b32 s2, s0
	s_cbranch_execz .LBB25_43
; %bb.36:
	s_clause 0x1
	s_load_dwordx2 s[12:13], s[4:5], 0x58
	s_load_dword s2, s[4:5], 0x48
	s_waitcnt lgkmcnt(0)
	s_mul_i32 s0, s13, s6
	s_mul_hi_u32 s3, s12, s6
	s_mul_i32 s4, s12, s6
	s_add_i32 s5, s3, s0
	s_cmpk_lg_i32 s8, 0x7a
	s_mov_b32 s0, -1
	s_cbranch_scc0 .LBB25_40
; %bb.37:
	s_add_i32 s0, s10, -1
	s_ashr_i32 s3, s2, 31
	s_mul_hi_u32 s7, s2, s0
	s_mul_i32 s6, s3, s0
	v_sub_nc_u32_e32 v1, s0, v0
	s_add_i32 s7, s7, s6
	s_mul_i32 s6, s2, s0
	s_lshl_b64 s[8:9], s[4:5], 3
	s_lshl_b64 s[6:7], s[6:7], 3
	v_lshlrev_b32_e32 v4, 3, v1
	s_add_u32 s0, s8, s6
	s_addc_u32 s8, s9, s7
	s_lshl_b64 s[6:7], s[20:21], 3
	v_lshlrev_b32_e32 v1, 3, v0
	s_add_u32 s0, s0, s6
	s_addc_u32 s6, s8, s7
	s_add_u32 s0, s18, s0
	s_addc_u32 s8, s19, s6
	v_add_co_u32 v1, s0, s0, v1
	s_lshl_b64 s[6:7], s[2:3], 3
	v_add_co_ci_u32_e64 v2, null, s8, 0, s0
	s_sub_u32 s3, 0, s6
	s_subb_u32 s7, 0, s7
	s_mov_b32 s6, 0
.LBB25_38:                              ; =>This Inner Loop Header: Depth=1
	ds_read_b64 v[5:6], v4
	s_add_i32 s10, s10, -1
	v_add_nc_u32_e32 v4, s1, v4
	v_cmp_le_u32_e32 vcc_lo, s10, v0
	s_or_b32 s6, vcc_lo, s6
	s_waitcnt lgkmcnt(0)
	flat_store_dwordx2 v[1:2], v[5:6]
	v_add_co_u32 v1, s0, v1, s3
	v_add_co_ci_u32_e64 v2, null, s7, v2, s0
	s_andn2_b32 exec_lo, exec_lo, s6
	s_cbranch_execnz .LBB25_38
; %bb.39:
	s_or_b32 exec_lo, exec_lo, s6
	s_mov_b32 s0, 0
.LBB25_40:
	s_and_b32 vcc_lo, exec_lo, s0
	s_cbranch_vccz .LBB25_43
; %bb.41:
	s_lshl_b64 s[6:7], s[20:21], 3
	v_lshlrev_b32_e32 v1, 3, v0
	s_add_u32 s0, s18, s6
	s_addc_u32 s3, s19, s7
	s_lshl_b64 s[4:5], s[4:5], 3
	v_add_nc_u32_e32 v0, 1, v0
	s_add_u32 s0, s0, s4
	s_addc_u32 s4, s3, s5
	v_add_co_u32 v1, s0, s0, v1
	v_add_co_ci_u32_e64 v2, null, s4, 0, s0
	s_ashr_i32 s3, s2, 31
	s_mov_b32 s4, 0
	s_lshl_b64 s[2:3], s[2:3], 3
.LBB25_42:                              ; =>This Inner Loop Header: Depth=1
	ds_read_b64 v[4:5], v3
	v_add_nc_u32_e32 v0, -1, v0
	v_add_nc_u32_e32 v3, s1, v3
	v_cmp_eq_u32_e32 vcc_lo, 0, v0
	s_or_b32 s4, vcc_lo, s4
	s_waitcnt lgkmcnt(0)
	flat_store_dwordx2 v[1:2], v[4:5]
	v_add_co_u32 v1, s0, v1, s2
	v_add_co_ci_u32_e64 v2, null, s3, v2, s0
	s_andn2_b32 exec_lo, exec_lo, s4
	s_cbranch_execnz .LBB25_42
.LBB25_43:
	s_endpgm
	.section	.rodata,"a",@progbits
	.p2align	6, 0x0
	.amdhsa_kernel _ZL26rocblas_trtri_small_kernelILi16E19rocblas_complex_numIfEPKPKS1_PKPS1_Ev13rocblas_fill_17rocblas_diagonal_iT1_lillT2_lilli
		.amdhsa_group_segment_fixed_size 2048
		.amdhsa_private_segment_fixed_size 0
		.amdhsa_kernarg_size 100
		.amdhsa_user_sgpr_count 6
		.amdhsa_user_sgpr_private_segment_buffer 1
		.amdhsa_user_sgpr_dispatch_ptr 0
		.amdhsa_user_sgpr_queue_ptr 0
		.amdhsa_user_sgpr_kernarg_segment_ptr 1
		.amdhsa_user_sgpr_dispatch_id 0
		.amdhsa_user_sgpr_flat_scratch_init 0
		.amdhsa_user_sgpr_private_segment_size 0
		.amdhsa_wavefront_size32 1
		.amdhsa_uses_dynamic_stack 0
		.amdhsa_system_sgpr_private_segment_wavefront_offset 0
		.amdhsa_system_sgpr_workgroup_id_x 1
		.amdhsa_system_sgpr_workgroup_id_y 0
		.amdhsa_system_sgpr_workgroup_id_z 1
		.amdhsa_system_sgpr_workgroup_info 0
		.amdhsa_system_vgpr_workitem_id 0
		.amdhsa_next_free_vgpr 13
		.amdhsa_next_free_sgpr 28
		.amdhsa_reserve_vcc 1
		.amdhsa_reserve_flat_scratch 0
		.amdhsa_float_round_mode_32 0
		.amdhsa_float_round_mode_16_64 0
		.amdhsa_float_denorm_mode_32 3
		.amdhsa_float_denorm_mode_16_64 3
		.amdhsa_dx10_clamp 1
		.amdhsa_ieee_mode 1
		.amdhsa_fp16_overflow 0
		.amdhsa_workgroup_processor_mode 1
		.amdhsa_memory_ordered 1
		.amdhsa_forward_progress 1
		.amdhsa_shared_vgpr_count 0
		.amdhsa_exception_fp_ieee_invalid_op 0
		.amdhsa_exception_fp_denorm_src 0
		.amdhsa_exception_fp_ieee_div_zero 0
		.amdhsa_exception_fp_ieee_overflow 0
		.amdhsa_exception_fp_ieee_underflow 0
		.amdhsa_exception_fp_ieee_inexact 0
		.amdhsa_exception_int_div_zero 0
	.end_amdhsa_kernel
	.section	.text._ZL26rocblas_trtri_small_kernelILi16E19rocblas_complex_numIfEPKPKS1_PKPS1_Ev13rocblas_fill_17rocblas_diagonal_iT1_lillT2_lilli,"axG",@progbits,_ZL26rocblas_trtri_small_kernelILi16E19rocblas_complex_numIfEPKPKS1_PKPS1_Ev13rocblas_fill_17rocblas_diagonal_iT1_lillT2_lilli,comdat
.Lfunc_end25:
	.size	_ZL26rocblas_trtri_small_kernelILi16E19rocblas_complex_numIfEPKPKS1_PKPS1_Ev13rocblas_fill_17rocblas_diagonal_iT1_lillT2_lilli, .Lfunc_end25-_ZL26rocblas_trtri_small_kernelILi16E19rocblas_complex_numIfEPKPKS1_PKPS1_Ev13rocblas_fill_17rocblas_diagonal_iT1_lillT2_lilli
                                        ; -- End function
	.set _ZL26rocblas_trtri_small_kernelILi16E19rocblas_complex_numIfEPKPKS1_PKPS1_Ev13rocblas_fill_17rocblas_diagonal_iT1_lillT2_lilli.num_vgpr, 13
	.set _ZL26rocblas_trtri_small_kernelILi16E19rocblas_complex_numIfEPKPKS1_PKPS1_Ev13rocblas_fill_17rocblas_diagonal_iT1_lillT2_lilli.num_agpr, 0
	.set _ZL26rocblas_trtri_small_kernelILi16E19rocblas_complex_numIfEPKPKS1_PKPS1_Ev13rocblas_fill_17rocblas_diagonal_iT1_lillT2_lilli.numbered_sgpr, 28
	.set _ZL26rocblas_trtri_small_kernelILi16E19rocblas_complex_numIfEPKPKS1_PKPS1_Ev13rocblas_fill_17rocblas_diagonal_iT1_lillT2_lilli.num_named_barrier, 0
	.set _ZL26rocblas_trtri_small_kernelILi16E19rocblas_complex_numIfEPKPKS1_PKPS1_Ev13rocblas_fill_17rocblas_diagonal_iT1_lillT2_lilli.private_seg_size, 0
	.set _ZL26rocblas_trtri_small_kernelILi16E19rocblas_complex_numIfEPKPKS1_PKPS1_Ev13rocblas_fill_17rocblas_diagonal_iT1_lillT2_lilli.uses_vcc, 1
	.set _ZL26rocblas_trtri_small_kernelILi16E19rocblas_complex_numIfEPKPKS1_PKPS1_Ev13rocblas_fill_17rocblas_diagonal_iT1_lillT2_lilli.uses_flat_scratch, 0
	.set _ZL26rocblas_trtri_small_kernelILi16E19rocblas_complex_numIfEPKPKS1_PKPS1_Ev13rocblas_fill_17rocblas_diagonal_iT1_lillT2_lilli.has_dyn_sized_stack, 0
	.set _ZL26rocblas_trtri_small_kernelILi16E19rocblas_complex_numIfEPKPKS1_PKPS1_Ev13rocblas_fill_17rocblas_diagonal_iT1_lillT2_lilli.has_recursion, 0
	.set _ZL26rocblas_trtri_small_kernelILi16E19rocblas_complex_numIfEPKPKS1_PKPS1_Ev13rocblas_fill_17rocblas_diagonal_iT1_lillT2_lilli.has_indirect_call, 0
	.section	.AMDGPU.csdata,"",@progbits
; Kernel info:
; codeLenInByte = 1824
; TotalNumSgprs: 30
; NumVgprs: 13
; ScratchSize: 0
; MemoryBound: 0
; FloatMode: 240
; IeeeMode: 1
; LDSByteSize: 2048 bytes/workgroup (compile time only)
; SGPRBlocks: 0
; VGPRBlocks: 1
; NumSGPRsForWavesPerEU: 30
; NumVGPRsForWavesPerEU: 13
; Occupancy: 16
; WaveLimiterHint : 0
; COMPUTE_PGM_RSRC2:SCRATCH_EN: 0
; COMPUTE_PGM_RSRC2:USER_SGPR: 6
; COMPUTE_PGM_RSRC2:TRAP_HANDLER: 0
; COMPUTE_PGM_RSRC2:TGID_X_EN: 1
; COMPUTE_PGM_RSRC2:TGID_Y_EN: 0
; COMPUTE_PGM_RSRC2:TGID_Z_EN: 1
; COMPUTE_PGM_RSRC2:TIDIG_COMP_CNT: 0
	.section	.text._ZL29rocblas_trtri_diagonal_kernelILi16E19rocblas_complex_numIfEPKPKS1_PKPS1_Ev13rocblas_fill_17rocblas_diagonal_iT1_lillT2_lilli,"axG",@progbits,_ZL29rocblas_trtri_diagonal_kernelILi16E19rocblas_complex_numIfEPKPKS1_PKPS1_Ev13rocblas_fill_17rocblas_diagonal_iT1_lillT2_lilli,comdat
	.globl	_ZL29rocblas_trtri_diagonal_kernelILi16E19rocblas_complex_numIfEPKPKS1_PKPS1_Ev13rocblas_fill_17rocblas_diagonal_iT1_lillT2_lilli ; -- Begin function _ZL29rocblas_trtri_diagonal_kernelILi16E19rocblas_complex_numIfEPKPKS1_PKPS1_Ev13rocblas_fill_17rocblas_diagonal_iT1_lillT2_lilli
	.p2align	8
	.type	_ZL29rocblas_trtri_diagonal_kernelILi16E19rocblas_complex_numIfEPKPKS1_PKPS1_Ev13rocblas_fill_17rocblas_diagonal_iT1_lillT2_lilli,@function
_ZL29rocblas_trtri_diagonal_kernelILi16E19rocblas_complex_numIfEPKPKS1_PKPS1_Ev13rocblas_fill_17rocblas_diagonal_iT1_lillT2_lilli: ; @_ZL29rocblas_trtri_diagonal_kernelILi16E19rocblas_complex_numIfEPKPKS1_PKPS1_Ev13rocblas_fill_17rocblas_diagonal_iT1_lillT2_lilli
; %bb.0:
	s_load_dwordx4 s[8:11], s[4:5], 0x0
	s_mov_b32 s0, s7
	s_waitcnt lgkmcnt(0)
	s_ashr_i32 s1, s10, 31
	s_lshr_b32 s1, s1, 27
	s_add_i32 s1, s10, s1
	s_ashr_i32 s1, s1, 5
	v_cvt_f32_u32_e32 v1, s1
	s_sub_i32 s3, 0, s1
	v_rcp_iflag_f32_e32 v1, v1
	v_mul_f32_e32 v1, 0x4f7ffffe, v1
	v_cvt_u32_f32_e32 v1, v1
	v_readfirstlane_b32 s2, v1
	s_mul_i32 s3, s3, s2
	s_mul_hi_u32 s3, s2, s3
	s_add_i32 s2, s2, s3
	s_mul_hi_u32 s2, s6, s2
	s_mul_i32 s3, s2, s1
	s_add_i32 s7, s2, 1
	s_sub_i32 s3, s6, s3
	s_sub_i32 s11, s3, s1
	s_cmp_ge_u32 s3, s1
	s_cselect_b32 s2, s7, s2
	s_cselect_b32 s3, s11, s3
	s_add_i32 s7, s2, 1
	s_cmp_ge_u32 s3, s1
	s_cselect_b32 s24, s7, s2
	s_mul_i32 s1, s24, s1
	s_sub_i32 s25, s6, s1
	s_mov_b32 s1, 0
	s_lshl_b32 s2, s25, 4
	s_cmp_eq_u32 s10, s2
	s_cbranch_scc1 .LBB26_100
; %bb.1:
	s_clause 0x1
	s_load_dwordx4 s[12:15], s[4:5], 0x10
	s_load_dwordx4 s[16:19], s[4:5], 0x30
	s_lshl_b64 s[0:1], s[0:1], 3
	s_load_dwordx2 s[20:21], s[4:5], 0x40
	v_mov_b32_e32 v1, v0
	s_waitcnt lgkmcnt(0)
	s_add_u32 s6, s12, s0
	s_addc_u32 s7, s13, s1
	s_add_u32 s0, s18, s0
	s_addc_u32 s1, s19, s1
	s_load_dwordx2 s[12:13], s[6:7], 0x0
	s_load_dwordx2 s[6:7], s[0:1], 0x0
	s_sub_i32 s23, s10, s2
	s_min_u32 s22, s23, 16
	s_lshl_b32 s10, s22, 1
	v_cmp_gt_u32_e64 s2, s22, v0
	v_cmp_le_u32_e64 s0, s22, v0
	v_cmp_gt_u32_e64 s1, s10, v0
	v_cmp_le_u32_e32 vcc_lo, s10, v0
	s_and_saveexec_b32 s3, s0
	s_cbranch_execz .LBB26_7
; %bb.2:
                                        ; implicit-def: $vgpr1
	s_and_saveexec_b32 s11, vcc_lo
	s_xor_b32 s11, exec_lo, s11
; %bb.3:
	v_subrev_nc_u32_e32 v1, s10, v0
; %bb.4:
	s_andn2_saveexec_b32 s10, s11
; %bb.5:
	v_subrev_nc_u32_e32 v1, s22, v0
; %bb.6:
	s_or_b32 exec_lo, exec_lo, s10
.LBB26_7:
	s_or_b32 exec_lo, exec_lo, s3
	s_load_dword s10, s[4:5], 0x20
	v_cndmask_b32_e64 v2, 0, 0x1800, s1
	s_mul_i32 s3, s17, s24
	s_mul_hi_u32 s17, s16, s24
	v_cndmask_b32_e64 v9, v2, 0x1000, s2
	s_waitcnt lgkmcnt(0)
	s_ashr_i32 s11, s10, 31
	s_lshl_b64 s[18:19], s[10:11], 5
	s_add_u32 s2, s18, 32
	s_addc_u32 s18, s19, 0
	s_add_i32 s3, s17, s3
	s_mul_hi_u32 s17, s2, s25
	s_mul_i32 s19, s18, s25
	s_mul_i32 s18, s2, s25
	s_add_i32 s19, s17, s19
	s_mul_i32 s2, s16, s24
	s_and_saveexec_b32 s16, vcc_lo
	s_xor_b32 s26, exec_lo, s16
	s_cbranch_execz .LBB26_17
; %bb.8:
	s_mul_i32 s16, s22, 3
	s_mov_b32 s27, exec_lo
	v_cmpx_gt_u32_e64 s16, v0
	s_cbranch_execz .LBB26_16
; %bb.9:
	s_cmpk_eq_i32 s8, 0x7a
	s_mov_b32 s16, -1
	s_cbranch_scc1 .LBB26_13
; %bb.10:
	s_add_i32 s28, s22, -1
	s_lshl_b32 s36, s22, 3
	s_mul_i32 s17, s22, s28
	s_lshl_b64 s[30:31], s[2:3], 3
	s_lshl_b64 s[34:35], s[18:19], 3
	s_add_i32 s16, s22, 1
	s_lshl_b32 s33, s17, 3
	s_mov_b32 s29, 0
	s_sub_i32 s17, 0, s36
	v_lshlrev_b32_e32 v3, 3, v1
	s_add_u32 s30, s30, s34
	s_addc_u32 s31, s31, s35
	s_lshl_b64 s[28:29], s[28:29], 3
	v_ashrrev_i32_e32 v2, 31, v1
	s_add_u32 s28, s36, s28
	v_add3_u32 v4, s33, v3, v9
	s_mul_i32 s33, s28, s11
	s_mul_hi_u32 s34, s28, s10
	s_addc_u32 s29, 0, s29
	s_add_i32 s33, s34, s33
	s_mul_i32 s29, s29, s10
	s_mul_i32 s28, s28, s10
	s_add_i32 s33, s33, s29
	s_add_u32 s30, s30, s28
	s_addc_u32 s31, s31, s33
	s_lshl_b64 s[28:29], s[14:15], 3
	v_lshlrev_b64 v[2:3], 3, v[1:2]
	s_add_u32 s28, s30, s28
	s_addc_u32 s29, s31, s29
	s_add_u32 s28, s12, s28
	s_addc_u32 s29, s13, s29
	v_add_co_u32 v2, vcc_lo, s28, v2
	v_add_co_ci_u32_e64 v3, null, s29, v3, vcc_lo
	s_lshl_b64 s[28:29], s[10:11], 3
	s_sub_u32 s28, 0, s28
	s_subb_u32 s29, 0, s29
.LBB26_11:                              ; =>This Inner Loop Header: Depth=1
	flat_load_dwordx2 v[5:6], v[2:3]
	v_add_co_u32 v2, vcc_lo, v2, s28
	v_add_co_ci_u32_e64 v3, null, s29, v3, vcc_lo
	s_add_i32 s16, s16, -1
	s_cmp_gt_u32 s16, 1
	s_waitcnt vmcnt(0) lgkmcnt(0)
	ds_write_b64 v4, v[5:6]
	v_add_nc_u32_e32 v4, s17, v4
	s_cbranch_scc1 .LBB26_11
; %bb.12:
	s_mov_b32 s16, 0
.LBB26_13:
	s_and_b32 vcc_lo, exec_lo, s16
	s_cbranch_vccz .LBB26_16
; %bb.14:
	v_add_nc_u32_e32 v2, s22, v1
	s_lshl_b64 s[16:17], s[14:15], 3
	v_lshl_add_u32 v4, v1, 3, v9
	s_add_u32 s28, s12, s16
	s_addc_u32 s29, s13, s17
	v_ashrrev_i32_e32 v3, 31, v2
	s_lshl_b64 s[16:17], s[18:19], 3
	s_add_u32 s28, s28, s16
	s_addc_u32 s29, s29, s17
	v_lshlrev_b64 v[2:3], 3, v[2:3]
	s_lshl_b64 s[16:17], s[2:3], 3
	s_add_u32 s16, s28, s16
	s_addc_u32 s17, s29, s17
	s_lshl_b32 s28, s22, 3
	v_add_co_u32 v2, vcc_lo, s16, v2
	v_add_co_ci_u32_e64 v3, null, s17, v3, vcc_lo
	s_lshl_b64 s[16:17], s[10:11], 3
	s_mov_b32 s29, s22
.LBB26_15:                              ; =>This Inner Loop Header: Depth=1
	flat_load_dwordx2 v[5:6], v[2:3]
	v_add_co_u32 v2, vcc_lo, v2, s16
	v_add_co_ci_u32_e64 v3, null, s17, v3, vcc_lo
	s_add_i32 s29, s29, -1
	s_cmp_eq_u32 s29, 0
	s_waitcnt vmcnt(0) lgkmcnt(0)
	ds_write_b64 v4, v[5:6]
	v_add_nc_u32_e32 v4, s28, v4
	s_cbranch_scc0 .LBB26_15
.LBB26_16:
	s_or_b32 exec_lo, exec_lo, s27
.LBB26_17:
	s_andn2_saveexec_b32 s16, s26
	s_cbranch_execz .LBB26_31
; %bb.18:
	v_mov_b32_e32 v2, 0
	v_mov_b32_e32 v3, 0
	s_and_saveexec_b32 s17, s0
; %bb.19:
	s_add_u32 s26, s10, 1
	s_addc_u32 s27, s11, 0
	s_mul_hi_u32 s28, s26, s22
	s_mul_i32 s27, s27, s22
	s_mul_i32 s26, s26, s22
	s_add_i32 s27, s28, s27
	v_mov_b32_e32 v2, s26
	v_mov_b32_e32 v3, s27
; %bb.20:
	s_or_b32 exec_lo, exec_lo, s17
	v_lshlrev_b64 v[3:4], 3, v[2:3]
	s_cmpk_lg_i32 s8, 0x7a
	s_mov_b32 s17, -1
	s_cbranch_scc0 .LBB26_26
; %bb.21:
	s_lshl_b64 s[26:27], s[2:3], 3
	s_lshl_b64 s[28:29], s[18:19], 3
	s_add_i32 s17, s22, -1
	s_add_u32 s28, s26, s28
	s_mul_i32 s26, s11, s17
	s_mul_hi_u32 s30, s10, s17
	s_addc_u32 s29, s27, s29
	s_add_i32 s27, s30, s26
	s_mul_i32 s26, s10, s17
	v_ashrrev_i32_e32 v2, 31, v1
	s_lshl_b64 s[26:27], s[26:27], 3
	v_sub_nc_u32_e32 v7, s17, v1
	s_add_u32 s28, s28, s26
	s_addc_u32 s29, s29, s27
	s_lshl_b64 s[26:27], s[14:15], 3
	v_lshlrev_b64 v[5:6], 3, v[1:2]
	s_add_u32 s17, s26, s28
	s_addc_u32 s26, s27, s29
	v_add_co_u32 v8, vcc_lo, s17, v3
	v_add_co_ci_u32_e64 v10, null, s26, v4, vcc_lo
	v_lshl_add_u32 v2, v7, 3, v9
	v_add_co_u32 v5, vcc_lo, v8, v5
	v_add_co_ci_u32_e64 v6, null, v10, v6, vcc_lo
	s_lshl_b64 s[26:27], s[10:11], 3
	v_add_co_u32 v5, vcc_lo, s12, v5
	v_add_co_ci_u32_e64 v6, null, s13, v6, vcc_lo
	s_sub_u32 s17, 0, s26
	s_subb_u32 s26, 0, s27
	s_lshl_b32 s27, s22, 3
	s_mov_b32 s28, s22
	s_branch .LBB26_23
	.p2align	6
.LBB26_22:                              ;   in Loop: Header=BB26_23 Depth=1
	s_or_b32 exec_lo, exec_lo, s29
	v_add_co_u32 v5, vcc_lo, v5, s17
	s_waitcnt vmcnt(0) lgkmcnt(0)
	ds_write_b64 v2, v[7:8]
	v_add_co_ci_u32_e64 v6, null, s26, v6, vcc_lo
	v_add_nc_u32_e32 v2, s27, v2
	s_cmp_lt_i32 s28, 1
	s_cbranch_scc1 .LBB26_25
.LBB26_23:                              ; =>This Inner Loop Header: Depth=1
	v_mov_b32_e32 v7, 0
	v_mov_b32_e32 v8, 0
	s_add_i32 s28, s28, -1
	s_mov_b32 s29, exec_lo
	v_cmpx_ge_i32_e64 s28, v1
	s_cbranch_execz .LBB26_22
; %bb.24:                               ;   in Loop: Header=BB26_23 Depth=1
	flat_load_dwordx2 v[7:8], v[5:6]
	s_branch .LBB26_22
.LBB26_25:
	s_mov_b32 s17, 0
.LBB26_26:
	s_and_b32 vcc_lo, exec_lo, s17
	s_cbranch_vccz .LBB26_31
; %bb.27:
	s_lshl_b64 s[2:3], s[2:3], 3
	s_lshl_b64 s[18:19], s[18:19], 3
	v_ashrrev_i32_e32 v2, 31, v1
	s_add_u32 s17, s2, s18
	s_addc_u32 s18, s3, s19
	s_lshl_b64 s[2:3], s[14:15], 3
	s_add_u32 s2, s2, s17
	v_lshlrev_b64 v[5:6], 3, v[1:2]
	s_addc_u32 s3, s3, s18
	v_add_co_u32 v2, vcc_lo, s2, v3
	v_add_co_ci_u32_e64 v3, null, s3, v4, vcc_lo
	s_lshl_b64 s[2:3], s[10:11], 3
	v_add_co_u32 v2, vcc_lo, v2, v5
	v_add_co_ci_u32_e64 v3, null, v3, v6, vcc_lo
	v_lshl_add_u32 v6, v1, 3, v9
	v_add_co_u32 v2, vcc_lo, s12, v2
	v_add_co_ci_u32_e64 v3, null, s13, v3, vcc_lo
	s_lshl_b32 s10, s22, 3
	s_mov_b32 s11, 0
	s_branch .LBB26_29
	.p2align	6
.LBB26_28:                              ;   in Loop: Header=BB26_29 Depth=1
	s_or_b32 exec_lo, exec_lo, s12
	v_add_co_u32 v2, vcc_lo, v2, s2
	s_waitcnt vmcnt(0) lgkmcnt(0)
	ds_write_b64 v6, v[4:5]
	v_add_co_ci_u32_e64 v3, null, s3, v3, vcc_lo
	v_add_nc_u32_e32 v6, s10, v6
	s_add_i32 s11, s11, 1
	s_cmp_eq_u32 s22, s11
	s_cbranch_scc1 .LBB26_31
.LBB26_29:                              ; =>This Inner Loop Header: Depth=1
	v_mov_b32_e32 v4, 0
	v_mov_b32_e32 v5, 0
	s_mov_b32 s12, exec_lo
	v_cmpx_le_i32_e64 s11, v1
	s_cbranch_execz .LBB26_28
; %bb.30:                               ;   in Loop: Header=BB26_29 Depth=1
	flat_load_dwordx2 v[4:5], v[2:3]
	s_branch .LBB26_28
.LBB26_31:
	s_or_b32 exec_lo, exec_lo, s16
	s_waitcnt lgkmcnt(0)
	s_barrier
	buffer_gl0_inv
	s_and_saveexec_b32 s3, s1
	s_cbranch_execz .LBB26_44
; %bb.32:
	s_add_i32 s2, s22, 1
	s_cmpk_lg_i32 s9, 0x84
	v_mul_i32_i24_e32 v2, s2, v1
	s_mov_b32 s2, -1
	v_lshl_add_u32 v6, v2, 3, v9
	s_cbranch_scc0 .LBB26_42
; %bb.33:
	ds_read_b64 v[2:3], v6
	s_waitcnt lgkmcnt(0)
	v_cmp_neq_f32_e32 vcc_lo, 0, v2
	v_cmp_neq_f32_e64 s2, 0, v3
	s_or_b32 s2, vcc_lo, s2
	s_and_saveexec_b32 s9, s2
	s_xor_b32 s2, exec_lo, s9
	s_cbranch_execz .LBB26_39
; %bb.34:
	v_cmp_ngt_f32_e64 s9, |v2|, |v3|
                                        ; implicit-def: $vgpr4
	s_and_saveexec_b32 s10, s9
	s_xor_b32 s9, exec_lo, s10
	s_cbranch_execz .LBB26_36
; %bb.35:
	v_div_scale_f32 v4, null, v3, v3, v2
	v_div_scale_f32 v8, vcc_lo, v2, v3, v2
	v_rcp_f32_e32 v5, v4
	v_fma_f32 v7, -v4, v5, 1.0
	v_fmac_f32_e32 v5, v7, v5
	v_mul_f32_e32 v7, v8, v5
	v_fma_f32 v10, -v4, v7, v8
	v_fmac_f32_e32 v7, v10, v5
	v_fma_f32 v4, -v4, v7, v8
	v_div_fmas_f32 v4, v4, v5, v7
	v_div_fixup_f32 v4, v4, v3, v2
	v_fmac_f32_e32 v3, v2, v4
	v_div_scale_f32 v2, null, v3, v3, 1.0
	v_div_scale_f32 v8, vcc_lo, 1.0, v3, 1.0
	v_rcp_f32_e32 v5, v2
	v_fma_f32 v7, -v2, v5, 1.0
	v_fmac_f32_e32 v5, v7, v5
	v_mul_f32_e32 v7, v8, v5
	v_fma_f32 v10, -v2, v7, v8
	v_fmac_f32_e32 v7, v10, v5
	v_fma_f32 v2, -v2, v7, v8
	v_div_fmas_f32 v2, v2, v5, v7
	v_div_fixup_f32 v2, v2, v3, 1.0
	v_mul_f32_e32 v4, v4, v2
	v_xor_b32_e32 v5, 0x80000000, v2
                                        ; implicit-def: $vgpr2_vgpr3
.LBB26_36:
	s_andn2_saveexec_b32 s9, s9
	s_cbranch_execz .LBB26_38
; %bb.37:
	v_div_scale_f32 v4, null, v2, v2, v3
	v_div_scale_f32 v8, vcc_lo, v3, v2, v3
	v_rcp_f32_e32 v5, v4
	v_fma_f32 v7, -v4, v5, 1.0
	v_fmac_f32_e32 v5, v7, v5
	v_mul_f32_e32 v7, v8, v5
	v_fma_f32 v10, -v4, v7, v8
	v_fmac_f32_e32 v7, v10, v5
	v_fma_f32 v4, -v4, v7, v8
	v_div_fmas_f32 v4, v4, v5, v7
	v_div_fixup_f32 v5, v4, v2, v3
	v_fmac_f32_e32 v2, v3, v5
	v_div_scale_f32 v3, null, v2, v2, 1.0
	v_rcp_f32_e32 v4, v3
	v_fma_f32 v7, -v3, v4, 1.0
	v_fmac_f32_e32 v4, v7, v4
	v_div_scale_f32 v7, vcc_lo, 1.0, v2, 1.0
	v_mul_f32_e32 v8, v7, v4
	v_fma_f32 v10, -v3, v8, v7
	v_fmac_f32_e32 v8, v10, v4
	v_fma_f32 v3, -v3, v8, v7
	v_div_fmas_f32 v3, v3, v4, v8
	v_div_fixup_f32 v4, v3, v2, 1.0
	v_mul_f32_e64 v5, v5, -v4
.LBB26_38:
	s_or_b32 exec_lo, exec_lo, s9
	ds_write_b64 v6, v[4:5]
.LBB26_39:
	s_andn2_saveexec_b32 s2, s2
; %bb.40:
	v_mov_b32_e32 v2, 1.0
	v_mov_b32_e32 v3, 0
	ds_write_b64 v6, v[2:3]
; %bb.41:
	s_or_b32 exec_lo, exec_lo, s2
	s_mov_b32 s2, 0
.LBB26_42:
	s_andn2_b32 vcc_lo, exec_lo, s2
	s_cbranch_vccnz .LBB26_44
; %bb.43:
	v_mov_b32_e32 v2, 1.0
	v_mov_b32_e32 v3, 0
	ds_write_b64 v6, v[2:3]
.LBB26_44:
	s_or_b32 exec_lo, exec_lo, s3
	s_waitcnt lgkmcnt(0)
	s_barrier
	buffer_gl0_inv
	s_and_saveexec_b32 s2, s1
	s_cbranch_execz .LBB26_56
; %bb.45:
	s_add_i32 s3, s22, 1
	v_lshlrev_b32_e32 v3, 3, v1
	v_mul_i32_i24_e32 v4, s3, v1
	s_lshl_b32 s3, s22, 3
	v_add_nc_u32_e32 v5, 8, v9
	s_add_i32 s9, s3, 8
	v_add_nc_u32_e32 v2, v9, v3
	v_add3_u32 v3, v3, s3, v9
	v_lshl_add_u32 v4, v4, 3, v9
	s_mov_b32 s10, 0
	s_branch .LBB26_47
.LBB26_46:                              ;   in Loop: Header=BB26_47 Depth=1
	s_inst_prefetch 0x2
	v_add_nc_u32_e32 v3, s3, v3
	v_add_nc_u32_e32 v5, s9, v5
	s_cmp_eq_u32 s10, s22
	s_cbranch_scc1 .LBB26_56
.LBB26_47:                              ; =>This Loop Header: Depth=1
                                        ;     Child Loop BB26_52 Depth 2
	v_mov_b32_e32 v6, 0
	v_mov_b32_e32 v7, 0
	s_mul_i32 s11, s10, s22
	s_mov_b32 s12, exec_lo
	v_cmpx_lt_i32_e64 s10, v1
	s_cbranch_execz .LBB26_49
; %bb.48:                               ;   in Loop: Header=BB26_47 Depth=1
	s_lshl_b32 s13, s11, 3
	s_lshl_b32 s14, s10, 3
	v_add_nc_u32_e32 v6, s13, v2
	v_add3_u32 v8, s13, s14, v9
	ds_read_b64 v[6:7], v6
	ds_read_b64 v[10:11], v8
	s_waitcnt lgkmcnt(0)
	v_mul_f32_e32 v8, v11, v7
	v_mul_f32_e32 v7, v10, v7
	v_fma_f32 v8, v10, v6, -v8
	v_fmac_f32_e32 v7, v11, v6
	v_add_f32_e32 v6, 0, v8
	v_add_f32_e32 v7, 0, v7
.LBB26_49:                              ;   in Loop: Header=BB26_47 Depth=1
	s_or_b32 exec_lo, exec_lo, s12
	s_add_i32 s10, s10, 1
	s_cmp_ge_u32 s10, s22
	s_cbranch_scc1 .LBB26_46
; %bb.50:                               ;   in Loop: Header=BB26_47 Depth=1
	v_lshl_add_u32 v8, s11, 3, v2
	v_mov_b32_e32 v10, v5
	v_mov_b32_e32 v11, v3
	s_mov_b32 s11, s10
	s_inst_prefetch 0x1
	s_branch .LBB26_52
	.p2align	6
.LBB26_51:                              ;   in Loop: Header=BB26_52 Depth=2
	s_or_b32 exec_lo, exec_lo, s12
	v_add_nc_u32_e32 v11, s3, v11
	v_add_nc_u32_e32 v10, 8, v10
	s_add_i32 s11, s11, 1
	s_cmp_eq_u32 s22, s11
	s_cbranch_scc1 .LBB26_46
.LBB26_52:                              ;   Parent Loop BB26_47 Depth=1
                                        ; =>  This Inner Loop Header: Depth=2
	s_mov_b32 s12, exec_lo
	v_cmpx_eq_u32_e64 s11, v1
	s_cbranch_execz .LBB26_54
; %bb.53:                               ;   in Loop: Header=BB26_52 Depth=2
	ds_read_b64 v[12:13], v4
	v_sub_f32_e32 v15, 0, v6
	s_waitcnt lgkmcnt(0)
	v_mul_f32_e32 v14, v7, v13
	v_mul_f32_e32 v16, v7, v12
	v_fmac_f32_e32 v14, v15, v12
	v_fma_f32 v15, -v6, v13, -v16
	ds_write_b64 v8, v[14:15]
.LBB26_54:                              ;   in Loop: Header=BB26_52 Depth=2
	s_or_b32 exec_lo, exec_lo, s12
	s_mov_b32 s12, exec_lo
	v_cmpx_lt_i32_e64 s11, v1
	s_cbranch_execz .LBB26_51
; %bb.55:                               ;   in Loop: Header=BB26_52 Depth=2
	ds_read_b64 v[12:13], v11
	ds_read_b64 v[14:15], v10
	s_waitcnt lgkmcnt(0)
	v_mul_f32_e32 v16, v15, v13
	v_mul_f32_e32 v13, v14, v13
	v_fma_f32 v14, v14, v12, -v16
	v_fmac_f32_e32 v13, v15, v12
	v_add_f32_e32 v6, v6, v14
	v_add_f32_e32 v7, v7, v13
	s_branch .LBB26_51
.LBB26_56:
	s_or_b32 exec_lo, exec_lo, s2
	s_and_b32 s2, s22, 0xffff
	v_cvt_f32_ubyte0_e32 v4, v0
	v_cvt_f32_u32_e32 v2, s2
	s_mul_i32 s2, s22, s22
	s_cmpk_lg_i32 s8, 0x7a
	v_cmp_gt_u32_e64 s2, s2, v0
	s_cselect_b32 s3, -1, 0
	v_rcp_iflag_f32_e32 v3, v2
	s_mov_b32 s9, 0
	s_waitcnt lgkmcnt(0)
	s_barrier
	buffer_gl0_inv
	v_mul_f32_e32 v3, v4, v3
	v_trunc_f32_e32 v3, v3
	v_fma_f32 v4, -v3, v2, v4
	v_cvt_u32_f32_e32 v3, v3
	v_cmp_ge_f32_e64 vcc_lo, |v4|, v2
	v_add_co_ci_u32_e64 v2, null, 0, v3, vcc_lo
	s_and_b32 vcc_lo, exec_lo, s3
	v_mul_lo_u16 v3, v2, s22
	v_and_b32_e32 v4, 0xffff, v2
	v_sub_nc_u16 v3, v0, v3
	v_and_b32_e32 v0, 0xffff, v3
	s_cbranch_vccz .LBB26_62
; %bb.57:
	s_mov_b32 s8, 0
                                        ; implicit-def: $vgpr2
                                        ; implicit-def: $vgpr3
	s_and_saveexec_b32 s10, s2
	s_cbranch_execz .LBB26_61
; %bb.58:
	v_lshlrev_b32_e32 v3, 7, v4
	v_lshlrev_b32_e32 v5, 3, v0
	v_mov_b32_e32 v2, 0
	v_mov_b32_e32 v7, 0
	s_mov_b32 s11, -1
	v_sub_nc_u32_e32 v6, 0x1ff8, v3
	.p2align	6
.LBB26_59:                              ; =>This Inner Loop Header: Depth=1
	ds_read_b64 v[10:11], v5
	ds_read_b64 v[12:13], v6
	s_add_i32 s11, s11, 1
	v_add_nc_u32_e32 v6, -8, v6
	v_cmp_ge_u32_e32 vcc_lo, s11, v4
	v_add_nc_u32_e32 v5, 0x80, v5
	s_or_b32 s9, vcc_lo, s9
	s_waitcnt lgkmcnt(0)
	v_mul_f32_e32 v8, v13, v11
	v_mul_f32_e32 v11, v12, v11
	v_fma_f32 v8, v12, v10, -v8
	v_fmac_f32_e32 v11, v13, v10
	v_add_f32_e32 v7, v7, v8
	v_add_f32_e32 v2, v2, v11
	s_andn2_b32 exec_lo, exec_lo, s9
	s_cbranch_execnz .LBB26_59
; %bb.60:
	s_or_b32 exec_lo, exec_lo, s9
	v_lshl_add_u32 v5, v0, 3, v3
	s_mov_b32 s9, exec_lo
	v_add_nc_u32_e32 v3, 0x800, v5
	ds_write_b32 v5, v7 offset:2048
.LBB26_61:
	s_or_b32 exec_lo, exec_lo, s10
	s_and_b32 vcc_lo, exec_lo, s8
	s_cbranch_vccnz .LBB26_63
	s_branch .LBB26_72
.LBB26_62:
                                        ; implicit-def: $vgpr2
                                        ; implicit-def: $vgpr3
	s_cbranch_execz .LBB26_72
.LBB26_63:
                                        ; implicit-def: $vgpr2
                                        ; implicit-def: $vgpr3
	s_and_saveexec_b32 s8, s2
	s_cbranch_execz .LBB26_71
; %bb.64:
	v_lshlrev_b32_e32 v3, 7, v4
	s_mov_b32 s10, exec_lo
	v_cmpx_lt_u16_e32 15, v4
	s_xor_b32 s10, exec_lo, s10
; %bb.65:
	v_lshlrev_b32_e32 v3, 7, v4
; %bb.66:
	s_or_saveexec_b32 s10, s10
	v_mov_b32_e32 v2, 0
	v_mov_b32_e32 v5, 0
	s_xor_b32 exec_lo, exec_lo, s10
	s_cbranch_execz .LBB26_70
; %bb.67:
	s_movk_i32 s11, 0x88
	v_add_nc_u32_e32 v6, -1, v4
	v_mad_u32_u24 v7, v4, s11, 0x1000
	v_lshl_add_u32 v8, v0, 3, v3
	v_mov_b32_e32 v2, 0
	v_mov_b32_e32 v5, 0
	s_mov_b32 s11, 0
	.p2align	6
.LBB26_68:                              ; =>This Inner Loop Header: Depth=1
	ds_read_b64 v[10:11], v8
	ds_read_b64 v[12:13], v7
	v_add_nc_u32_e32 v6, 1, v6
	v_add_nc_u32_e32 v7, 8, v7
	;; [unrolled: 1-line block ×3, first 2 shown]
	v_cmp_lt_u32_e32 vcc_lo, 14, v6
	s_or_b32 s11, vcc_lo, s11
	s_waitcnt lgkmcnt(0)
	v_mul_f32_e32 v14, v13, v11
	v_mul_f32_e32 v11, v12, v11
	v_fma_f32 v12, v12, v10, -v14
	v_fmac_f32_e32 v11, v13, v10
	v_add_f32_e32 v5, v5, v12
	v_add_f32_e32 v2, v2, v11
	s_andn2_b32 exec_lo, exec_lo, s11
	s_cbranch_execnz .LBB26_68
; %bb.69:
	s_or_b32 exec_lo, exec_lo, s11
.LBB26_70:
	s_or_b32 exec_lo, exec_lo, s10
	v_lshl_add_u32 v6, v0, 3, v3
	s_or_b32 s9, s9, exec_lo
	v_add_nc_u32_e32 v3, 0x800, v6
	ds_write_b32 v6, v5 offset:2048
.LBB26_71:
	s_or_b32 exec_lo, exec_lo, s8
.LBB26_72:
	s_and_saveexec_b32 s8, s9
; %bb.73:
	ds_write_b32 v3, v2 offset:4
; %bb.74:
	s_or_b32 exec_lo, exec_lo, s8
	s_clause 0x1
	s_load_dword s8, s[4:5], 0x48
	s_load_dwordx2 s[12:13], s[4:5], 0x58
	s_lshl_b64 s[4:5], s[20:21], 3
	s_waitcnt lgkmcnt(0)
	s_barrier
	buffer_gl0_inv
	s_ashr_i32 s9, s8, 31
	s_add_u32 s14, s6, s4
	s_addc_u32 s15, s7, s5
	s_lshl_b64 s[10:11], s[8:9], 5
	s_mul_i32 s13, s13, s24
	s_add_u32 s10, s10, 32
	s_addc_u32 s11, s11, 0
	s_mul_hi_u32 s16, s10, s25
	s_mul_i32 s11, s11, s25
	s_mul_i32 s10, s10, s25
	s_add_i32 s11, s16, s11
	s_mul_hi_u32 s16, s12, s24
	s_lshl_b64 s[10:11], s[10:11], 3
	s_mul_i32 s12, s12, s24
	s_add_u32 s14, s14, s10
	s_addc_u32 s15, s15, s11
	s_add_i32 s13, s16, s13
	s_lshl_b64 s[12:13], s[12:13], 3
	s_add_u32 s14, s14, s12
	s_addc_u32 s15, s15, s13
	s_and_b32 vcc_lo, exec_lo, s3
	s_cbranch_vccz .LBB26_80
; %bb.75:
	s_mov_b32 s17, 0
	s_mov_b32 s16, 0
                                        ; implicit-def: $vgpr5
                                        ; implicit-def: $vgpr2_vgpr3
	s_and_saveexec_b32 s18, s2
	s_cbranch_execz .LBB26_79
; %bb.76:
	v_lshlrev_b32_e32 v2, 3, v0
	s_lshl_b32 s19, s22, 3
	v_mul_u32_u24_e32 v5, s22, v4
	v_mov_b32_e32 v6, 0
	v_sub_nc_u32_e32 v3, s19, v2
	s_sub_i32 s19, 0, s19
	v_lshlrev_b32_e32 v5, 3, v5
	v_mul_i32_i24_e32 v3, s22, v3
	v_add3_u32 v7, v5, v2, 0x800
	v_mov_b32_e32 v5, 0
	v_sub_nc_u32_e32 v8, v3, v2
	v_add_nc_u32_e32 v3, -1, v0
	v_add_nc_u32_e32 v8, 0xff8, v8
	.p2align	6
.LBB26_77:                              ; =>This Inner Loop Header: Depth=1
	ds_read_b64 v[10:11], v8
	ds_read_b64 v[12:13], v7
	v_add_nc_u32_e32 v3, 1, v3
	v_add_nc_u32_e32 v7, 8, v7
	;; [unrolled: 1-line block ×3, first 2 shown]
	v_cmp_lt_u32_e32 vcc_lo, 14, v3
	s_or_b32 s16, vcc_lo, s16
	s_waitcnt lgkmcnt(0)
	v_mul_f32_e32 v14, v10, v12
	v_mul_f32_e32 v10, v10, v13
	v_fma_f32 v13, v11, v13, -v14
	v_fma_f32 v10, v12, -v11, -v10
	v_add_f32_e32 v6, v6, v13
	v_add_f32_e32 v5, v5, v10
	s_andn2_b32 exec_lo, exec_lo, s16
	s_cbranch_execnz .LBB26_77
; %bb.78:
	s_or_b32 exec_lo, exec_lo, s16
	v_mad_i64_i32 v[7:8], null, v4, s8, 0
	s_mul_hi_i32 s21, s22, s8
	s_mul_i32 s20, s22, s8
	s_mov_b32 s16, exec_lo
	s_lshl_b64 s[20:21], s[20:21], 3
	s_add_u32 s19, s14, s20
	v_lshlrev_b64 v[7:8], 3, v[7:8]
	s_addc_u32 s20, s15, s21
	v_add_co_u32 v2, s19, s19, v2
	v_add_co_ci_u32_e64 v3, null, s20, 0, s19
	v_add_co_u32 v2, vcc_lo, v2, v7
	v_add_co_ci_u32_e64 v3, null, v3, v8, vcc_lo
	flat_store_dword v[2:3], v6
.LBB26_79:
	s_or_b32 exec_lo, exec_lo, s18
	s_and_b32 vcc_lo, exec_lo, s17
	s_cbranch_vccnz .LBB26_81
	s_branch .LBB26_86
.LBB26_80:
	s_mov_b32 s16, 0
                                        ; implicit-def: $vgpr5
                                        ; implicit-def: $vgpr2_vgpr3
	s_cbranch_execz .LBB26_86
.LBB26_81:
                                        ; implicit-def: $vgpr5
                                        ; implicit-def: $vgpr2_vgpr3
	s_and_saveexec_b32 s17, s2
	s_cbranch_execz .LBB26_85
; %bb.82:
	v_mul_u32_u24_e32 v3, s22, v4
	v_lshl_add_u32 v2, v0, 3, 0x1800
	v_mov_b32_e32 v6, 0
	v_mov_b32_e32 v5, 0
	s_lshl_b32 s2, s22, 3
	v_lshl_add_u32 v3, v3, 3, 0x800
	s_mov_b32 s19, -1
	s_mov_b32 s18, 0
	.p2align	6
.LBB26_83:                              ; =>This Inner Loop Header: Depth=1
	ds_read_b64 v[7:8], v2
	ds_read_b64 v[10:11], v3
	s_add_i32 s19, s19, 1
	v_add_nc_u32_e32 v3, 8, v3
	v_cmp_ge_u32_e32 vcc_lo, s19, v0
	v_add_nc_u32_e32 v2, s2, v2
	s_or_b32 s18, vcc_lo, s18
	s_waitcnt lgkmcnt(0)
	v_mul_f32_e32 v12, v7, v10
	v_mul_f32_e32 v7, v7, v11
	v_fma_f32 v11, v8, v11, -v12
	v_fma_f32 v7, v10, -v8, -v7
	v_add_f32_e32 v6, v6, v11
	v_add_f32_e32 v5, v5, v7
	s_andn2_b32 exec_lo, exec_lo, s18
	s_cbranch_execnz .LBB26_83
; %bb.84:
	s_or_b32 exec_lo, exec_lo, s18
	v_mad_i64_i32 v[2:3], null, v4, s8, 0
	v_add_lshl_u32 v0, s22, v0, 3
	s_or_b32 s16, s16, exec_lo
	v_lshlrev_b64 v[2:3], 3, v[2:3]
	v_add_co_u32 v2, vcc_lo, s14, v2
	v_add_co_ci_u32_e64 v3, null, s15, v3, vcc_lo
	v_add_co_u32 v2, vcc_lo, v2, v0
	v_add_co_ci_u32_e64 v3, null, 0, v3, vcc_lo
	flat_store_dword v[2:3], v6
.LBB26_85:
	s_or_b32 exec_lo, exec_lo, s17
.LBB26_86:
	s_and_saveexec_b32 s2, s16
	s_cbranch_execz .LBB26_88
; %bb.87:
	flat_store_dword v[2:3], v5 offset:4
.LBB26_88:
	s_or_b32 exec_lo, exec_lo, s2
	s_and_saveexec_b32 s2, s1
	s_cbranch_execz .LBB26_100
; %bb.89:
	v_mov_b32_e32 v3, 0
	v_mov_b32_e32 v4, 0
	s_and_saveexec_b32 s1, s0
	s_cbranch_execnz .LBB26_92
; %bb.90:
	s_or_b32 exec_lo, exec_lo, s1
	s_and_b32 vcc_lo, exec_lo, s3
	s_mov_b32 s0, -1
	s_cbranch_vccnz .LBB26_93
.LBB26_91:
	s_andn2_b32 vcc_lo, exec_lo, s0
	s_cbranch_vccz .LBB26_97
	s_branch .LBB26_100
.LBB26_92:
	s_add_u32 s0, s8, 1
	s_addc_u32 s2, s9, 0
	s_mul_hi_u32 s16, s0, s22
	s_mul_i32 s2, s2, s22
	s_add_i32 s17, s16, s2
	s_mul_i32 s16, s0, s22
	v_mov_b32_e32 v3, s16
	v_mov_b32_e32 v4, s17
	s_or_b32 exec_lo, exec_lo, s1
	s_and_b32 vcc_lo, exec_lo, s3
	s_mov_b32 s0, -1
	s_cbranch_vccz .LBB26_91
.LBB26_93:
	s_mov_b32 s1, exec_lo
	v_cmpx_gt_i32_e64 s22, v1
	s_cbranch_execz .LBB26_96
; %bb.94:
	s_cmp_lt_u32 s23, 16
	v_ashrrev_i32_e32 v2, 31, v1
	s_cselect_b32 s0, s23, 16
	s_cselect_b32 s2, 0, 0
	s_add_u32 s0, s0, -1
	s_addc_u32 s2, s2, -1
	s_mul_i32 s3, s0, s9
	s_mul_hi_u32 s16, s0, s8
	s_mul_i32 s2, s2, s8
	s_add_i32 s3, s16, s3
	v_lshlrev_b64 v[5:6], 3, v[3:4]
	s_add_i32 s3, s3, s2
	s_mul_i32 s2, s0, s8
	v_lshlrev_b64 v[7:8], 3, v[1:2]
	s_lshl_b64 s[2:3], s[2:3], 3
	v_xad_u32 v0, v1, -1, s22
	s_add_u32 s0, s2, s12
	s_addc_u32 s2, s3, s13
	s_add_u32 s0, s0, s10
	s_addc_u32 s2, s2, s11
	;; [unrolled: 2-line block ×3, first 2 shown]
	v_add_co_u32 v2, vcc_lo, s0, v5
	v_add_co_ci_u32_e64 v5, null, s2, v6, vcc_lo
	v_lshl_add_u32 v0, v0, 3, v9
	v_add_co_u32 v2, vcc_lo, v2, v7
	v_add_co_ci_u32_e64 v6, null, v5, v8, vcc_lo
	s_lshl_b64 s[4:5], s[8:9], 3
	v_add_co_u32 v5, vcc_lo, s6, v2
	v_add_co_ci_u32_e64 v6, null, s7, v6, vcc_lo
	s_sub_u32 s3, 0, s4
	s_mov_b32 s2, 0
	s_subb_u32 s4, 0, s5
	s_lshl_b32 s5, s22, 3
	s_mov_b32 s6, s22
.LBB26_95:                              ; =>This Inner Loop Header: Depth=1
	ds_read_b64 v[7:8], v0
	s_add_i32 s6, s6, -1
	v_add_nc_u32_e32 v0, s5, v0
	v_cmp_le_i32_e32 vcc_lo, s6, v1
	s_or_b32 s2, vcc_lo, s2
	s_waitcnt lgkmcnt(0)
	flat_store_dwordx2 v[5:6], v[7:8]
	v_add_co_u32 v5, s0, v5, s3
	v_add_co_ci_u32_e64 v6, null, s4, v6, s0
	s_andn2_b32 exec_lo, exec_lo, s2
	s_cbranch_execnz .LBB26_95
.LBB26_96:
	s_or_b32 exec_lo, exec_lo, s1
	s_cbranch_execnz .LBB26_100
.LBB26_97:
	v_cmp_lt_i32_e32 vcc_lo, -1, v1
	s_and_b32 exec_lo, exec_lo, vcc_lo
	s_cbranch_execz .LBB26_100
; %bb.98:
	v_mov_b32_e32 v2, 0
	v_lshlrev_b64 v[3:4], 3, v[3:4]
	v_lshl_add_u32 v0, v1, 3, v9
	s_lshl_b64 s[2:3], s[8:9], 3
	s_lshl_b32 s1, s22, 3
	v_lshlrev_b64 v[5:6], 3, v[1:2]
	v_add_nc_u32_e32 v1, 1, v1
	v_add_co_u32 v2, vcc_lo, s14, v3
	v_add_co_ci_u32_e64 v3, null, s15, v4, vcc_lo
	s_mov_b32 s4, 0
	v_add_co_u32 v2, vcc_lo, v2, v5
	v_add_co_ci_u32_e64 v3, null, v3, v6, vcc_lo
.LBB26_99:                              ; =>This Inner Loop Header: Depth=1
	ds_read_b64 v[4:5], v0
	v_add_nc_u32_e32 v1, -1, v1
	v_add_nc_u32_e32 v0, s1, v0
	v_cmp_eq_u32_e32 vcc_lo, 0, v1
	s_or_b32 s4, vcc_lo, s4
	s_waitcnt lgkmcnt(0)
	flat_store_dwordx2 v[2:3], v[4:5]
	v_add_co_u32 v2, s0, v2, s2
	v_add_co_ci_u32_e64 v3, null, s3, v3, s0
	s_andn2_b32 exec_lo, exec_lo, s4
	s_cbranch_execnz .LBB26_99
.LBB26_100:
	s_endpgm
	.section	.rodata,"a",@progbits
	.p2align	6, 0x0
	.amdhsa_kernel _ZL29rocblas_trtri_diagonal_kernelILi16E19rocblas_complex_numIfEPKPKS1_PKPS1_Ev13rocblas_fill_17rocblas_diagonal_iT1_lillT2_lilli
		.amdhsa_group_segment_fixed_size 8192
		.amdhsa_private_segment_fixed_size 0
		.amdhsa_kernarg_size 100
		.amdhsa_user_sgpr_count 6
		.amdhsa_user_sgpr_private_segment_buffer 1
		.amdhsa_user_sgpr_dispatch_ptr 0
		.amdhsa_user_sgpr_queue_ptr 0
		.amdhsa_user_sgpr_kernarg_segment_ptr 1
		.amdhsa_user_sgpr_dispatch_id 0
		.amdhsa_user_sgpr_flat_scratch_init 0
		.amdhsa_user_sgpr_private_segment_size 0
		.amdhsa_wavefront_size32 1
		.amdhsa_uses_dynamic_stack 0
		.amdhsa_system_sgpr_private_segment_wavefront_offset 0
		.amdhsa_system_sgpr_workgroup_id_x 1
		.amdhsa_system_sgpr_workgroup_id_y 0
		.amdhsa_system_sgpr_workgroup_id_z 1
		.amdhsa_system_sgpr_workgroup_info 0
		.amdhsa_system_vgpr_workitem_id 0
		.amdhsa_next_free_vgpr 17
		.amdhsa_next_free_sgpr 37
		.amdhsa_reserve_vcc 1
		.amdhsa_reserve_flat_scratch 0
		.amdhsa_float_round_mode_32 0
		.amdhsa_float_round_mode_16_64 0
		.amdhsa_float_denorm_mode_32 3
		.amdhsa_float_denorm_mode_16_64 3
		.amdhsa_dx10_clamp 1
		.amdhsa_ieee_mode 1
		.amdhsa_fp16_overflow 0
		.amdhsa_workgroup_processor_mode 1
		.amdhsa_memory_ordered 1
		.amdhsa_forward_progress 1
		.amdhsa_shared_vgpr_count 0
		.amdhsa_exception_fp_ieee_invalid_op 0
		.amdhsa_exception_fp_denorm_src 0
		.amdhsa_exception_fp_ieee_div_zero 0
		.amdhsa_exception_fp_ieee_overflow 0
		.amdhsa_exception_fp_ieee_underflow 0
		.amdhsa_exception_fp_ieee_inexact 0
		.amdhsa_exception_int_div_zero 0
	.end_amdhsa_kernel
	.section	.text._ZL29rocblas_trtri_diagonal_kernelILi16E19rocblas_complex_numIfEPKPKS1_PKPS1_Ev13rocblas_fill_17rocblas_diagonal_iT1_lillT2_lilli,"axG",@progbits,_ZL29rocblas_trtri_diagonal_kernelILi16E19rocblas_complex_numIfEPKPKS1_PKPS1_Ev13rocblas_fill_17rocblas_diagonal_iT1_lillT2_lilli,comdat
.Lfunc_end26:
	.size	_ZL29rocblas_trtri_diagonal_kernelILi16E19rocblas_complex_numIfEPKPKS1_PKPS1_Ev13rocblas_fill_17rocblas_diagonal_iT1_lillT2_lilli, .Lfunc_end26-_ZL29rocblas_trtri_diagonal_kernelILi16E19rocblas_complex_numIfEPKPKS1_PKPS1_Ev13rocblas_fill_17rocblas_diagonal_iT1_lillT2_lilli
                                        ; -- End function
	.set _ZL29rocblas_trtri_diagonal_kernelILi16E19rocblas_complex_numIfEPKPKS1_PKPS1_Ev13rocblas_fill_17rocblas_diagonal_iT1_lillT2_lilli.num_vgpr, 17
	.set _ZL29rocblas_trtri_diagonal_kernelILi16E19rocblas_complex_numIfEPKPKS1_PKPS1_Ev13rocblas_fill_17rocblas_diagonal_iT1_lillT2_lilli.num_agpr, 0
	.set _ZL29rocblas_trtri_diagonal_kernelILi16E19rocblas_complex_numIfEPKPKS1_PKPS1_Ev13rocblas_fill_17rocblas_diagonal_iT1_lillT2_lilli.numbered_sgpr, 37
	.set _ZL29rocblas_trtri_diagonal_kernelILi16E19rocblas_complex_numIfEPKPKS1_PKPS1_Ev13rocblas_fill_17rocblas_diagonal_iT1_lillT2_lilli.num_named_barrier, 0
	.set _ZL29rocblas_trtri_diagonal_kernelILi16E19rocblas_complex_numIfEPKPKS1_PKPS1_Ev13rocblas_fill_17rocblas_diagonal_iT1_lillT2_lilli.private_seg_size, 0
	.set _ZL29rocblas_trtri_diagonal_kernelILi16E19rocblas_complex_numIfEPKPKS1_PKPS1_Ev13rocblas_fill_17rocblas_diagonal_iT1_lillT2_lilli.uses_vcc, 1
	.set _ZL29rocblas_trtri_diagonal_kernelILi16E19rocblas_complex_numIfEPKPKS1_PKPS1_Ev13rocblas_fill_17rocblas_diagonal_iT1_lillT2_lilli.uses_flat_scratch, 0
	.set _ZL29rocblas_trtri_diagonal_kernelILi16E19rocblas_complex_numIfEPKPKS1_PKPS1_Ev13rocblas_fill_17rocblas_diagonal_iT1_lillT2_lilli.has_dyn_sized_stack, 0
	.set _ZL29rocblas_trtri_diagonal_kernelILi16E19rocblas_complex_numIfEPKPKS1_PKPS1_Ev13rocblas_fill_17rocblas_diagonal_iT1_lillT2_lilli.has_recursion, 0
	.set _ZL29rocblas_trtri_diagonal_kernelILi16E19rocblas_complex_numIfEPKPKS1_PKPS1_Ev13rocblas_fill_17rocblas_diagonal_iT1_lillT2_lilli.has_indirect_call, 0
	.section	.AMDGPU.csdata,"",@progbits
; Kernel info:
; codeLenInByte = 4084
; TotalNumSgprs: 39
; NumVgprs: 17
; ScratchSize: 0
; MemoryBound: 0
; FloatMode: 240
; IeeeMode: 1
; LDSByteSize: 8192 bytes/workgroup (compile time only)
; SGPRBlocks: 0
; VGPRBlocks: 2
; NumSGPRsForWavesPerEU: 39
; NumVGPRsForWavesPerEU: 17
; Occupancy: 16
; WaveLimiterHint : 1
; COMPUTE_PGM_RSRC2:SCRATCH_EN: 0
; COMPUTE_PGM_RSRC2:USER_SGPR: 6
; COMPUTE_PGM_RSRC2:TRAP_HANDLER: 0
; COMPUTE_PGM_RSRC2:TGID_X_EN: 1
; COMPUTE_PGM_RSRC2:TGID_Y_EN: 0
; COMPUTE_PGM_RSRC2:TGID_Z_EN: 1
; COMPUTE_PGM_RSRC2:TIDIG_COMP_CNT: 0
	.section	.text._ZL30rocblas_trtri_remainder_kernelILi16E19rocblas_complex_numIfEPKPKS1_PKPS1_Ev13rocblas_fill_17rocblas_diagonal_iT1_lillT2_lilli,"axG",@progbits,_ZL30rocblas_trtri_remainder_kernelILi16E19rocblas_complex_numIfEPKPKS1_PKPS1_Ev13rocblas_fill_17rocblas_diagonal_iT1_lillT2_lilli,comdat
	.globl	_ZL30rocblas_trtri_remainder_kernelILi16E19rocblas_complex_numIfEPKPKS1_PKPS1_Ev13rocblas_fill_17rocblas_diagonal_iT1_lillT2_lilli ; -- Begin function _ZL30rocblas_trtri_remainder_kernelILi16E19rocblas_complex_numIfEPKPKS1_PKPS1_Ev13rocblas_fill_17rocblas_diagonal_iT1_lillT2_lilli
	.p2align	8
	.type	_ZL30rocblas_trtri_remainder_kernelILi16E19rocblas_complex_numIfEPKPKS1_PKPS1_Ev13rocblas_fill_17rocblas_diagonal_iT1_lillT2_lilli,@function
_ZL30rocblas_trtri_remainder_kernelILi16E19rocblas_complex_numIfEPKPKS1_PKPS1_Ev13rocblas_fill_17rocblas_diagonal_iT1_lillT2_lilli: ; @_ZL30rocblas_trtri_remainder_kernelILi16E19rocblas_complex_numIfEPKPKS1_PKPS1_Ev13rocblas_fill_17rocblas_diagonal_iT1_lillT2_lilli
; %bb.0:
	s_load_dwordx4 s[8:11], s[4:5], 0x0
	s_waitcnt lgkmcnt(0)
	s_cmp_lt_i32 s10, 1
	s_cbranch_scc1 .LBB27_43
; %bb.1:
	s_clause 0x1
	s_load_dwordx4 s[16:19], s[4:5], 0x30
	s_load_dwordx2 s[20:21], s[4:5], 0x40
	s_mov_b32 s0, s7
	s_mov_b32 s1, 0
	s_lshl_b64 s[2:3], s[0:1], 3
	s_waitcnt lgkmcnt(0)
	s_add_u32 s0, s18, s2
	s_addc_u32 s1, s19, s3
	s_load_dwordx2 s[18:19], s[0:1], 0x0
	v_cmp_le_u32_e64 s1, s10, v0
	v_cmp_gt_u32_e64 s0, s10, v0
	s_and_saveexec_b32 s7, s0
	s_cbranch_execz .LBB27_9
; %bb.2:
	s_clause 0x1
	s_load_dwordx4 s[12:15], s[4:5], 0x10
	s_load_dword s22, s[4:5], 0x20
	s_waitcnt lgkmcnt(0)
	s_add_u32 s2, s12, s2
	s_addc_u32 s3, s13, s3
	s_load_dwordx2 s[12:13], s[2:3], 0x0
	s_mul_i32 s2, s17, s6
	s_mul_hi_u32 s3, s16, s6
	s_mul_i32 s16, s16, s6
	s_add_i32 s17, s3, s2
	s_cmpk_lg_i32 s8, 0x7a
	s_mov_b32 s2, -1
	s_cbranch_scc0 .LBB27_6
; %bb.3:
	s_add_i32 s2, s10, -1
	s_ashr_i32 s23, s22, 31
	s_mul_hi_u32 s11, s22, s2
	s_mul_i32 s3, s23, s2
	v_sub_nc_u32_e32 v1, s2, v0
	s_add_i32 s3, s11, s3
	s_mul_i32 s2, s22, s2
	s_lshl_b64 s[24:25], s[16:17], 3
	s_lshl_b64 s[26:27], s[2:3], 3
	s_lshl_b32 s3, s10, 3
	s_add_u32 s2, s24, s26
	s_addc_u32 s11, s25, s27
	s_lshl_b64 s[24:25], s[14:15], 3
	v_lshlrev_b32_e32 v3, 3, v1
	v_lshlrev_b32_e32 v1, 3, v0
	s_add_u32 s2, s2, s24
	s_addc_u32 s11, s11, s25
	s_waitcnt lgkmcnt(0)
	s_add_u32 s2, s12, s2
	s_addc_u32 s11, s13, s11
	v_add_co_u32 v1, s2, s2, v1
	s_lshl_b64 s[24:25], s[22:23], 3
	v_add_co_ci_u32_e64 v2, null, s11, 0, s2
	s_sub_u32 s11, 0, s24
	s_subb_u32 s24, 0, s25
	s_mov_b32 s23, 0
	s_mov_b32 s25, s10
.LBB27_4:                               ; =>This Inner Loop Header: Depth=1
	flat_load_dwordx2 v[4:5], v[1:2]
	s_add_i32 s25, s25, -1
	v_add_co_u32 v1, vcc_lo, v1, s11
	v_cmp_le_u32_e64 s2, s25, v0
	v_add_co_ci_u32_e64 v2, null, s24, v2, vcc_lo
	s_or_b32 s23, s2, s23
	s_waitcnt vmcnt(0) lgkmcnt(0)
	ds_write_b64 v3, v[4:5]
	v_add_nc_u32_e32 v3, s3, v3
	s_andn2_b32 exec_lo, exec_lo, s23
	s_cbranch_execnz .LBB27_4
; %bb.5:
	s_or_b32 exec_lo, exec_lo, s23
	s_mov_b32 s2, 0
.LBB27_6:
	s_and_b32 vcc_lo, exec_lo, s2
	s_cbranch_vccz .LBB27_9
; %bb.7:
	s_lshl_b64 s[2:3], s[14:15], 3
	v_lshlrev_b32_e32 v3, 3, v0
	s_waitcnt lgkmcnt(0)
	s_add_u32 s11, s12, s2
	s_addc_u32 s12, s13, s3
	s_lshl_b64 s[2:3], s[16:17], 3
	v_add_nc_u32_e32 v4, 1, v0
	s_add_u32 s2, s11, s2
	s_addc_u32 s3, s12, s3
	v_add_co_u32 v1, s2, s2, v3
	v_add_co_ci_u32_e64 v2, null, s3, 0, s2
	s_ashr_i32 s23, s22, 31
	s_lshl_b32 s3, s10, 3
	s_lshl_b64 s[12:13], s[22:23], 3
	s_mov_b32 s11, 0
.LBB27_8:                               ; =>This Inner Loop Header: Depth=1
	flat_load_dwordx2 v[5:6], v[1:2]
	v_add_nc_u32_e32 v4, -1, v4
	v_add_co_u32 v1, vcc_lo, v1, s12
	v_add_co_ci_u32_e64 v2, null, s13, v2, vcc_lo
	v_cmp_eq_u32_e64 s2, 0, v4
	s_or_b32 s11, s2, s11
	s_waitcnt vmcnt(0) lgkmcnt(0)
	ds_write_b64 v3, v[5:6]
	v_add_nc_u32_e32 v3, s3, v3
	s_andn2_b32 exec_lo, exec_lo, s11
	s_cbranch_execnz .LBB27_8
.LBB27_9:
	s_or_b32 exec_lo, exec_lo, s7
	s_waitcnt lgkmcnt(0)
	s_barrier
	buffer_gl0_inv
                                        ; implicit-def: $vgpr1
	s_and_saveexec_b32 s2, s1
	s_xor_b32 s1, exec_lo, s2
; %bb.10:
	v_mad_u64_u32 v[1:2], null, v0, s10, v[0:1]
; %bb.11:
	s_andn2_saveexec_b32 s2, s1
	s_cbranch_execz .LBB27_24
; %bb.12:
	v_mad_u64_u32 v[1:2], null, v0, s10, v[0:1]
	s_cmpk_lg_i32 s9, 0x84
	s_mov_b32 s1, -1
	v_lshlrev_b32_e32 v6, 3, v1
	s_cbranch_scc0 .LBB27_22
; %bb.13:
	ds_read_b64 v[2:3], v6
	s_waitcnt lgkmcnt(0)
	v_cmp_neq_f32_e32 vcc_lo, 0, v2
	v_cmp_neq_f32_e64 s1, 0, v3
	s_or_b32 s1, vcc_lo, s1
	s_and_saveexec_b32 s3, s1
	s_xor_b32 s1, exec_lo, s3
	s_cbranch_execz .LBB27_19
; %bb.14:
	v_cmp_ngt_f32_e64 s3, |v2|, |v3|
                                        ; implicit-def: $vgpr4
	s_and_saveexec_b32 s7, s3
	s_xor_b32 s3, exec_lo, s7
	s_cbranch_execz .LBB27_16
; %bb.15:
	v_div_scale_f32 v4, null, v3, v3, v2
	v_div_scale_f32 v8, vcc_lo, v2, v3, v2
	v_rcp_f32_e32 v5, v4
	v_fma_f32 v7, -v4, v5, 1.0
	v_fmac_f32_e32 v5, v7, v5
	v_mul_f32_e32 v7, v8, v5
	v_fma_f32 v9, -v4, v7, v8
	v_fmac_f32_e32 v7, v9, v5
	v_fma_f32 v4, -v4, v7, v8
	v_div_fmas_f32 v4, v4, v5, v7
	v_div_fixup_f32 v4, v4, v3, v2
	v_fmac_f32_e32 v3, v2, v4
	v_div_scale_f32 v2, null, v3, v3, 1.0
	v_div_scale_f32 v8, vcc_lo, 1.0, v3, 1.0
	v_rcp_f32_e32 v5, v2
	v_fma_f32 v7, -v2, v5, 1.0
	v_fmac_f32_e32 v5, v7, v5
	v_mul_f32_e32 v7, v8, v5
	v_fma_f32 v9, -v2, v7, v8
	v_fmac_f32_e32 v7, v9, v5
	v_fma_f32 v2, -v2, v7, v8
	v_div_fmas_f32 v2, v2, v5, v7
	v_div_fixup_f32 v2, v2, v3, 1.0
	v_mul_f32_e32 v4, v4, v2
	v_xor_b32_e32 v5, 0x80000000, v2
                                        ; implicit-def: $vgpr2_vgpr3
.LBB27_16:
	s_andn2_saveexec_b32 s3, s3
	s_cbranch_execz .LBB27_18
; %bb.17:
	v_div_scale_f32 v4, null, v2, v2, v3
	v_div_scale_f32 v8, vcc_lo, v3, v2, v3
	v_rcp_f32_e32 v5, v4
	v_fma_f32 v7, -v4, v5, 1.0
	v_fmac_f32_e32 v5, v7, v5
	v_mul_f32_e32 v7, v8, v5
	v_fma_f32 v9, -v4, v7, v8
	v_fmac_f32_e32 v7, v9, v5
	v_fma_f32 v4, -v4, v7, v8
	v_div_fmas_f32 v4, v4, v5, v7
	v_div_fixup_f32 v5, v4, v2, v3
	v_fmac_f32_e32 v2, v3, v5
	v_div_scale_f32 v3, null, v2, v2, 1.0
	v_rcp_f32_e32 v4, v3
	v_fma_f32 v7, -v3, v4, 1.0
	v_fmac_f32_e32 v4, v7, v4
	v_div_scale_f32 v7, vcc_lo, 1.0, v2, 1.0
	v_mul_f32_e32 v8, v7, v4
	v_fma_f32 v9, -v3, v8, v7
	v_fmac_f32_e32 v8, v9, v4
	v_fma_f32 v3, -v3, v8, v7
	v_div_fmas_f32 v3, v3, v4, v8
	v_div_fixup_f32 v4, v3, v2, 1.0
	v_mul_f32_e64 v5, v5, -v4
.LBB27_18:
	s_or_b32 exec_lo, exec_lo, s3
	ds_write_b64 v6, v[4:5]
.LBB27_19:
	s_andn2_saveexec_b32 s1, s1
; %bb.20:
	v_mov_b32_e32 v2, 1.0
	v_mov_b32_e32 v3, 0
	ds_write_b64 v6, v[2:3]
; %bb.21:
	s_or_b32 exec_lo, exec_lo, s1
	s_mov_b32 s1, 0
.LBB27_22:
	s_andn2_b32 vcc_lo, exec_lo, s1
	s_cbranch_vccnz .LBB27_24
; %bb.23:
	v_mov_b32_e32 v2, 1.0
	v_mov_b32_e32 v3, 0
	ds_write_b64 v6, v[2:3]
.LBB27_24:
	s_or_b32 exec_lo, exec_lo, s2
	v_lshlrev_b32_e32 v3, 3, v0
	s_lshl_b32 s1, s10, 3
	v_lshlrev_b32_e32 v1, 3, v1
	s_mov_b32 s2, 8
	s_add_i32 s3, s1, 8
	v_add_nc_u32_e32 v2, s1, v3
	s_mov_b32 s7, 0
	s_waitcnt lgkmcnt(0)
	s_barrier
	buffer_gl0_inv
	s_branch .LBB27_26
.LBB27_25:                              ;   in Loop: Header=BB27_26 Depth=1
	s_inst_prefetch 0x2
	v_add_nc_u32_e32 v2, s1, v2
	s_add_i32 s2, s2, s3
	s_cmp_eq_u32 s7, s10
	s_barrier
	buffer_gl0_inv
	s_cbranch_scc1 .LBB27_35
.LBB27_26:                              ; =>This Loop Header: Depth=1
                                        ;     Child Loop BB27_31 Depth 2
	v_mov_b32_e32 v4, 0
	v_mov_b32_e32 v5, 0
	s_mul_i32 s9, s7, s10
	s_mov_b32 s11, exec_lo
	v_cmpx_lt_u32_e64 s7, v0
	s_cbranch_execz .LBB27_28
; %bb.27:                               ;   in Loop: Header=BB27_26 Depth=1
	s_lshl_b32 s12, s9, 3
	s_lshl_b32 s13, s7, 3
	v_add_nc_u32_e32 v4, s12, v3
	s_add_i32 s13, s13, s12
	v_mov_b32_e32 v6, s13
	ds_read_b64 v[4:5], v4
	ds_read_b64 v[6:7], v6
	s_waitcnt lgkmcnt(0)
	v_mul_f32_e32 v8, v7, v5
	v_mul_f32_e32 v5, v6, v5
	v_fma_f32 v6, v6, v4, -v8
	v_fmac_f32_e32 v5, v7, v4
	v_add_f32_e32 v4, 0, v6
	v_add_f32_e32 v5, 0, v5
.LBB27_28:                              ;   in Loop: Header=BB27_26 Depth=1
	s_or_b32 exec_lo, exec_lo, s11
	s_add_i32 s7, s7, 1
	s_cmp_ge_i32 s7, s10
	s_barrier
	buffer_gl0_inv
	s_cbranch_scc1 .LBB27_25
; %bb.29:                               ;   in Loop: Header=BB27_26 Depth=1
	v_lshl_add_u32 v6, s9, 3, v3
	v_mov_b32_e32 v7, v2
	s_mov_b32 s9, s2
	s_mov_b32 s11, s7
	s_inst_prefetch 0x1
	s_branch .LBB27_31
	.p2align	6
.LBB27_30:                              ;   in Loop: Header=BB27_31 Depth=2
	s_or_b32 exec_lo, exec_lo, s12
	v_add_nc_u32_e32 v7, s1, v7
	s_add_i32 s11, s11, 1
	s_add_i32 s9, s9, 8
	s_cmp_eq_u32 s10, s11
	s_barrier
	buffer_gl0_inv
	s_cbranch_scc1 .LBB27_25
.LBB27_31:                              ;   Parent Loop BB27_26 Depth=1
                                        ; =>  This Inner Loop Header: Depth=2
	s_mov_b32 s12, exec_lo
	v_cmpx_eq_u32_e64 s11, v0
	s_cbranch_execz .LBB27_33
; %bb.32:                               ;   in Loop: Header=BB27_31 Depth=2
	ds_read_b64 v[8:9], v1
	v_sub_f32_e32 v11, 0, v4
	s_waitcnt lgkmcnt(0)
	v_mul_f32_e32 v10, v5, v9
	v_mul_f32_e32 v12, v5, v8
	v_fmac_f32_e32 v10, v11, v8
	v_fma_f32 v11, -v4, v9, -v12
	ds_write_b64 v6, v[10:11]
.LBB27_33:                              ;   in Loop: Header=BB27_31 Depth=2
	s_or_b32 exec_lo, exec_lo, s12
	s_mov_b32 s12, exec_lo
	s_waitcnt lgkmcnt(0)
	s_barrier
	buffer_gl0_inv
	v_cmpx_lt_u32_e64 s11, v0
	s_cbranch_execz .LBB27_30
; %bb.34:                               ;   in Loop: Header=BB27_31 Depth=2
	v_mov_b32_e32 v10, s9
	ds_read_b64 v[8:9], v7
	ds_read_b64 v[10:11], v10
	s_waitcnt lgkmcnt(0)
	v_mul_f32_e32 v12, v11, v9
	v_mul_f32_e32 v9, v10, v9
	v_fma_f32 v10, v10, v8, -v12
	v_fmac_f32_e32 v9, v11, v8
	v_add_f32_e32 v4, v4, v10
	v_add_f32_e32 v5, v5, v9
	s_branch .LBB27_30
.LBB27_35:
	s_and_saveexec_b32 s2, s0
	s_cbranch_execz .LBB27_43
; %bb.36:
	s_clause 0x1
	s_load_dwordx2 s[12:13], s[4:5], 0x58
	s_load_dword s2, s[4:5], 0x48
	s_waitcnt lgkmcnt(0)
	s_mul_i32 s0, s13, s6
	s_mul_hi_u32 s3, s12, s6
	s_mul_i32 s4, s12, s6
	s_add_i32 s5, s3, s0
	s_cmpk_lg_i32 s8, 0x7a
	s_mov_b32 s0, -1
	s_cbranch_scc0 .LBB27_40
; %bb.37:
	s_add_i32 s0, s10, -1
	s_ashr_i32 s3, s2, 31
	s_mul_hi_u32 s7, s2, s0
	s_mul_i32 s6, s3, s0
	v_sub_nc_u32_e32 v1, s0, v0
	s_add_i32 s7, s7, s6
	s_mul_i32 s6, s2, s0
	s_lshl_b64 s[8:9], s[4:5], 3
	s_lshl_b64 s[6:7], s[6:7], 3
	v_lshlrev_b32_e32 v4, 3, v1
	s_add_u32 s0, s8, s6
	s_addc_u32 s8, s9, s7
	s_lshl_b64 s[6:7], s[20:21], 3
	v_lshlrev_b32_e32 v1, 3, v0
	s_add_u32 s0, s0, s6
	s_addc_u32 s6, s8, s7
	s_add_u32 s0, s18, s0
	s_addc_u32 s8, s19, s6
	v_add_co_u32 v1, s0, s0, v1
	s_lshl_b64 s[6:7], s[2:3], 3
	v_add_co_ci_u32_e64 v2, null, s8, 0, s0
	s_sub_u32 s3, 0, s6
	s_subb_u32 s7, 0, s7
	s_mov_b32 s6, 0
.LBB27_38:                              ; =>This Inner Loop Header: Depth=1
	ds_read_b64 v[5:6], v4
	s_add_i32 s10, s10, -1
	v_add_nc_u32_e32 v4, s1, v4
	v_cmp_le_u32_e32 vcc_lo, s10, v0
	s_or_b32 s6, vcc_lo, s6
	s_waitcnt lgkmcnt(0)
	flat_store_dwordx2 v[1:2], v[5:6]
	v_add_co_u32 v1, s0, v1, s3
	v_add_co_ci_u32_e64 v2, null, s7, v2, s0
	s_andn2_b32 exec_lo, exec_lo, s6
	s_cbranch_execnz .LBB27_38
; %bb.39:
	s_or_b32 exec_lo, exec_lo, s6
	s_mov_b32 s0, 0
.LBB27_40:
	s_and_b32 vcc_lo, exec_lo, s0
	s_cbranch_vccz .LBB27_43
; %bb.41:
	s_lshl_b64 s[6:7], s[20:21], 3
	v_lshlrev_b32_e32 v1, 3, v0
	s_add_u32 s0, s18, s6
	s_addc_u32 s3, s19, s7
	s_lshl_b64 s[4:5], s[4:5], 3
	v_add_nc_u32_e32 v0, 1, v0
	s_add_u32 s0, s0, s4
	s_addc_u32 s4, s3, s5
	v_add_co_u32 v1, s0, s0, v1
	v_add_co_ci_u32_e64 v2, null, s4, 0, s0
	s_ashr_i32 s3, s2, 31
	s_mov_b32 s4, 0
	s_lshl_b64 s[2:3], s[2:3], 3
.LBB27_42:                              ; =>This Inner Loop Header: Depth=1
	ds_read_b64 v[4:5], v3
	v_add_nc_u32_e32 v0, -1, v0
	v_add_nc_u32_e32 v3, s1, v3
	v_cmp_eq_u32_e32 vcc_lo, 0, v0
	s_or_b32 s4, vcc_lo, s4
	s_waitcnt lgkmcnt(0)
	flat_store_dwordx2 v[1:2], v[4:5]
	v_add_co_u32 v1, s0, v1, s2
	v_add_co_ci_u32_e64 v2, null, s3, v2, s0
	s_andn2_b32 exec_lo, exec_lo, s4
	s_cbranch_execnz .LBB27_42
.LBB27_43:
	s_endpgm
	.section	.rodata,"a",@progbits
	.p2align	6, 0x0
	.amdhsa_kernel _ZL30rocblas_trtri_remainder_kernelILi16E19rocblas_complex_numIfEPKPKS1_PKPS1_Ev13rocblas_fill_17rocblas_diagonal_iT1_lillT2_lilli
		.amdhsa_group_segment_fixed_size 8192
		.amdhsa_private_segment_fixed_size 0
		.amdhsa_kernarg_size 100
		.amdhsa_user_sgpr_count 6
		.amdhsa_user_sgpr_private_segment_buffer 1
		.amdhsa_user_sgpr_dispatch_ptr 0
		.amdhsa_user_sgpr_queue_ptr 0
		.amdhsa_user_sgpr_kernarg_segment_ptr 1
		.amdhsa_user_sgpr_dispatch_id 0
		.amdhsa_user_sgpr_flat_scratch_init 0
		.amdhsa_user_sgpr_private_segment_size 0
		.amdhsa_wavefront_size32 1
		.amdhsa_uses_dynamic_stack 0
		.amdhsa_system_sgpr_private_segment_wavefront_offset 0
		.amdhsa_system_sgpr_workgroup_id_x 1
		.amdhsa_system_sgpr_workgroup_id_y 0
		.amdhsa_system_sgpr_workgroup_id_z 1
		.amdhsa_system_sgpr_workgroup_info 0
		.amdhsa_system_vgpr_workitem_id 0
		.amdhsa_next_free_vgpr 13
		.amdhsa_next_free_sgpr 28
		.amdhsa_reserve_vcc 1
		.amdhsa_reserve_flat_scratch 0
		.amdhsa_float_round_mode_32 0
		.amdhsa_float_round_mode_16_64 0
		.amdhsa_float_denorm_mode_32 3
		.amdhsa_float_denorm_mode_16_64 3
		.amdhsa_dx10_clamp 1
		.amdhsa_ieee_mode 1
		.amdhsa_fp16_overflow 0
		.amdhsa_workgroup_processor_mode 1
		.amdhsa_memory_ordered 1
		.amdhsa_forward_progress 1
		.amdhsa_shared_vgpr_count 0
		.amdhsa_exception_fp_ieee_invalid_op 0
		.amdhsa_exception_fp_denorm_src 0
		.amdhsa_exception_fp_ieee_div_zero 0
		.amdhsa_exception_fp_ieee_overflow 0
		.amdhsa_exception_fp_ieee_underflow 0
		.amdhsa_exception_fp_ieee_inexact 0
		.amdhsa_exception_int_div_zero 0
	.end_amdhsa_kernel
	.section	.text._ZL30rocblas_trtri_remainder_kernelILi16E19rocblas_complex_numIfEPKPKS1_PKPS1_Ev13rocblas_fill_17rocblas_diagonal_iT1_lillT2_lilli,"axG",@progbits,_ZL30rocblas_trtri_remainder_kernelILi16E19rocblas_complex_numIfEPKPKS1_PKPS1_Ev13rocblas_fill_17rocblas_diagonal_iT1_lillT2_lilli,comdat
.Lfunc_end27:
	.size	_ZL30rocblas_trtri_remainder_kernelILi16E19rocblas_complex_numIfEPKPKS1_PKPS1_Ev13rocblas_fill_17rocblas_diagonal_iT1_lillT2_lilli, .Lfunc_end27-_ZL30rocblas_trtri_remainder_kernelILi16E19rocblas_complex_numIfEPKPKS1_PKPS1_Ev13rocblas_fill_17rocblas_diagonal_iT1_lillT2_lilli
                                        ; -- End function
	.set _ZL30rocblas_trtri_remainder_kernelILi16E19rocblas_complex_numIfEPKPKS1_PKPS1_Ev13rocblas_fill_17rocblas_diagonal_iT1_lillT2_lilli.num_vgpr, 13
	.set _ZL30rocblas_trtri_remainder_kernelILi16E19rocblas_complex_numIfEPKPKS1_PKPS1_Ev13rocblas_fill_17rocblas_diagonal_iT1_lillT2_lilli.num_agpr, 0
	.set _ZL30rocblas_trtri_remainder_kernelILi16E19rocblas_complex_numIfEPKPKS1_PKPS1_Ev13rocblas_fill_17rocblas_diagonal_iT1_lillT2_lilli.numbered_sgpr, 28
	.set _ZL30rocblas_trtri_remainder_kernelILi16E19rocblas_complex_numIfEPKPKS1_PKPS1_Ev13rocblas_fill_17rocblas_diagonal_iT1_lillT2_lilli.num_named_barrier, 0
	.set _ZL30rocblas_trtri_remainder_kernelILi16E19rocblas_complex_numIfEPKPKS1_PKPS1_Ev13rocblas_fill_17rocblas_diagonal_iT1_lillT2_lilli.private_seg_size, 0
	.set _ZL30rocblas_trtri_remainder_kernelILi16E19rocblas_complex_numIfEPKPKS1_PKPS1_Ev13rocblas_fill_17rocblas_diagonal_iT1_lillT2_lilli.uses_vcc, 1
	.set _ZL30rocblas_trtri_remainder_kernelILi16E19rocblas_complex_numIfEPKPKS1_PKPS1_Ev13rocblas_fill_17rocblas_diagonal_iT1_lillT2_lilli.uses_flat_scratch, 0
	.set _ZL30rocblas_trtri_remainder_kernelILi16E19rocblas_complex_numIfEPKPKS1_PKPS1_Ev13rocblas_fill_17rocblas_diagonal_iT1_lillT2_lilli.has_dyn_sized_stack, 0
	.set _ZL30rocblas_trtri_remainder_kernelILi16E19rocblas_complex_numIfEPKPKS1_PKPS1_Ev13rocblas_fill_17rocblas_diagonal_iT1_lillT2_lilli.has_recursion, 0
	.set _ZL30rocblas_trtri_remainder_kernelILi16E19rocblas_complex_numIfEPKPKS1_PKPS1_Ev13rocblas_fill_17rocblas_diagonal_iT1_lillT2_lilli.has_indirect_call, 0
	.section	.AMDGPU.csdata,"",@progbits
; Kernel info:
; codeLenInByte = 1832
; TotalNumSgprs: 30
; NumVgprs: 13
; ScratchSize: 0
; MemoryBound: 0
; FloatMode: 240
; IeeeMode: 1
; LDSByteSize: 8192 bytes/workgroup (compile time only)
; SGPRBlocks: 0
; VGPRBlocks: 1
; NumSGPRsForWavesPerEU: 30
; NumVGPRsForWavesPerEU: 13
; Occupancy: 16
; WaveLimiterHint : 0
; COMPUTE_PGM_RSRC2:SCRATCH_EN: 0
; COMPUTE_PGM_RSRC2:USER_SGPR: 6
; COMPUTE_PGM_RSRC2:TRAP_HANDLER: 0
; COMPUTE_PGM_RSRC2:TGID_X_EN: 1
; COMPUTE_PGM_RSRC2:TGID_Y_EN: 0
; COMPUTE_PGM_RSRC2:TGID_Z_EN: 1
; COMPUTE_PGM_RSRC2:TIDIG_COMP_CNT: 0
	.section	.text._ZL18rocblas_trtri_fillILi128E19rocblas_complex_numIdEPKPS1_EvP15_rocblas_handle13rocblas_fill_ililT1_llii,"axG",@progbits,_ZL18rocblas_trtri_fillILi128E19rocblas_complex_numIdEPKPS1_EvP15_rocblas_handle13rocblas_fill_ililT1_llii,comdat
	.globl	_ZL18rocblas_trtri_fillILi128E19rocblas_complex_numIdEPKPS1_EvP15_rocblas_handle13rocblas_fill_ililT1_llii ; -- Begin function _ZL18rocblas_trtri_fillILi128E19rocblas_complex_numIdEPKPS1_EvP15_rocblas_handle13rocblas_fill_ililT1_llii
	.p2align	8
	.type	_ZL18rocblas_trtri_fillILi128E19rocblas_complex_numIdEPKPS1_EvP15_rocblas_handle13rocblas_fill_ililT1_llii,@function
_ZL18rocblas_trtri_fillILi128E19rocblas_complex_numIdEPKPS1_EvP15_rocblas_handle13rocblas_fill_ililT1_llii: ; @_ZL18rocblas_trtri_fillILi128E19rocblas_complex_numIdEPKPS1_EvP15_rocblas_handle13rocblas_fill_ililT1_llii
; %bb.0:
	s_clause 0x1
	s_load_dword s1, s[4:5], 0x40
	s_load_dwordx2 s[2:3], s[4:5], 0x10
	s_mov_b32 s0, s7
	s_mov_b32 s7, 0
	s_lshl_b64 s[8:9], s[6:7], 7
	v_or_b32_e32 v0, s8, v0
	v_mov_b32_e32 v1, s9
	s_waitcnt lgkmcnt(0)
	s_ashr_i32 s6, s1, 31
	s_mul_hi_u32 s8, s2, s1
	s_mul_i32 s6, s2, s6
	s_mul_i32 s9, s3, s1
	s_add_i32 s6, s8, s6
	s_mul_i32 s12, s2, s1
	s_add_i32 s13, s6, s9
	s_mov_b32 s1, exec_lo
	v_cmpx_gt_u64_e64 s[12:13], v[0:1]
	s_cbranch_execz .LBB28_16
; %bb.1:
	s_clause 0x2
	s_load_dword s14, s[4:5], 0x18
	s_load_dwordx4 s[8:11], s[4:5], 0x20
	s_load_dwordx2 s[16:17], s[4:5], 0x30
	s_mov_b32 s1, s7
	v_cvt_f32_u32_e32 v2, s2
	s_lshl_b64 s[0:1], s[0:1], 3
	v_cvt_f32_u32_e32 v3, s3
	v_cvt_f32_u32_e32 v4, s2
	v_fmamk_f32 v2, v3, 0x4f800000, v2
	v_rcp_iflag_f32_e32 v3, v4
	v_rcp_f32_e32 v2, v2
	s_waitcnt lgkmcnt(0)
	s_ashr_i32 s15, s14, 31
	s_add_u32 s0, s10, s0
	s_addc_u32 s1, s11, s1
	v_mul_f32_e32 v3, 0x4f7ffffe, v3
	s_load_dwordx2 s[18:19], s[0:1], 0x0
	s_clause 0x2
	s_load_dwordx2 s[10:11], s[4:5], 0x8
	s_load_dword s0, s[4:5], 0x48
	s_load_dword s20, s[4:5], 0x54
	s_lshl_b64 s[4:5], s[16:17], 4
	v_mul_f32_e32 v4, 0x5f7ffffc, v2
	v_cvt_u32_f32_e32 v5, v3
	v_mul_f32_e32 v6, 0x2f800000, v4
	v_trunc_f32_e32 v6, v6
	v_fmamk_f32 v8, v6, 0xcf800000, v4
	s_waitcnt lgkmcnt(0)
	s_add_u32 s1, s18, s4
	s_addc_u32 s6, s19, s5
	s_add_i32 s4, s11, -1
	s_add_i32 s17, s11, -2
	s_mul_hi_i32 s5, s4, s11
	s_mul_i32 s4, s4, s11
	s_ashr_i32 s16, s11, 31
	s_lshl_b64 s[18:19], s[4:5], 2
	v_cvt_f64_i32_e32 v[2:3], s17
	s_add_u32 s17, s18, -7
	s_addc_u32 s18, s19, -1
	s_sub_i32 s19, 0, s2
	v_mov_b32_e32 v4, 0
	v_mul_lo_u32 v7, s19, v5
	v_cvt_u32_f32_e32 v12, v8
	v_cvt_u32_f32_e32 v13, v6
	s_and_b32 s20, s20, 0xffff
	s_lshr_b64 s[4:5], s[4:5], 1
	s_mul_hi_u32 s19, s20, s0
	s_mul_i32 s20, s20, s0
	v_mul_hi_u32 v7, v5, v7
	v_add_nc_u32_e32 v14, v5, v7
	s_branch .LBB28_3
.LBB28_2:                               ;   in Loop: Header=BB28_3 Depth=1
	v_add_co_u32 v0, vcc_lo, v0, s20
	v_add_co_ci_u32_e64 v1, null, s19, v1, vcc_lo
	v_cmp_le_u64_e32 vcc_lo, s[12:13], v[0:1]
	s_or_b32 s7, vcc_lo, s7
	s_andn2_b32 exec_lo, exec_lo, s7
	s_cbranch_execz .LBB28_16
.LBB28_3:                               ; =>This Inner Loop Header: Depth=1
	v_or_b32_e32 v5, s3, v1
                                        ; implicit-def: $vgpr6_vgpr7
	s_mov_b32 s0, exec_lo
	v_cmpx_ne_u64_e32 0, v[4:5]
	s_xor_b32 s21, exec_lo, s0
	s_cbranch_execz .LBB28_5
; %bb.4:                                ;   in Loop: Header=BB28_3 Depth=1
	v_readfirstlane_b32 s0, v12
	v_readfirstlane_b32 s22, v13
	s_sub_u32 s23, 0, s2
	s_subb_u32 s24, 0, s3
	s_mul_hi_u32 s25, s23, s0
	s_mul_i32 s26, s23, s22
	s_mul_i32 s27, s24, s0
	s_add_i32 s25, s25, s26
	s_mul_i32 s26, s23, s0
	s_add_i32 s25, s25, s27
	s_mul_hi_u32 s27, s0, s26
	s_mul_i32 s28, s0, s25
	s_mul_hi_u32 s29, s0, s25
	s_add_u32 s27, s27, s28
	s_mul_i32 s30, s22, s26
	s_addc_u32 s28, 0, s29
	s_mul_hi_u32 s26, s22, s26
	s_mul_hi_u32 s29, s22, s25
	s_add_u32 s27, s27, s30
	s_addc_u32 s26, s28, s26
	s_mul_i32 s25, s22, s25
	s_addc_u32 s27, s29, 0
	s_add_u32 s25, s26, s25
	s_addc_u32 s26, 0, s27
	s_add_u32 s0, s0, s25
	s_cselect_b32 s25, -1, 0
	s_mul_i32 s24, s24, s0
	s_cmp_lg_u32 s25, 0
	s_addc_u32 s22, s22, s26
	s_mul_hi_u32 s26, s23, s0
	s_mul_i32 s25, s23, s22
	s_mul_i32 s23, s23, s0
	s_add_i32 s25, s26, s25
	s_mul_hi_u32 s26, s22, s23
	s_add_i32 s25, s25, s24
	s_mul_i32 s27, s22, s23
	s_mul_i32 s28, s0, s25
	s_mul_hi_u32 s23, s0, s23
	s_mul_hi_u32 s29, s0, s25
	s_add_u32 s23, s23, s28
	s_addc_u32 s28, 0, s29
	s_mul_hi_u32 s24, s22, s25
	s_add_u32 s23, s23, s27
	s_addc_u32 s23, s28, s26
	s_mul_i32 s25, s22, s25
	s_addc_u32 s24, s24, 0
	s_add_u32 s23, s23, s25
	s_addc_u32 s24, 0, s24
	s_add_u32 s0, s0, s23
	s_cselect_b32 s23, -1, 0
	v_mul_hi_u32 v9, v0, s0
	s_cmp_lg_u32 s23, 0
	v_mad_u64_u32 v[7:8], null, v1, s0, 0
	s_addc_u32 s22, s22, s24
	v_mad_u64_u32 v[5:6], null, v0, s22, 0
	v_add_co_u32 v9, vcc_lo, v9, v5
	v_add_co_ci_u32_e64 v10, null, 0, v6, vcc_lo
	v_mad_u64_u32 v[5:6], null, v1, s22, 0
	v_add_co_u32 v7, vcc_lo, v9, v7
	v_add_co_ci_u32_e32 v7, vcc_lo, v10, v8, vcc_lo
	v_add_co_ci_u32_e32 v6, vcc_lo, 0, v6, vcc_lo
	v_add_co_u32 v8, vcc_lo, v7, v5
	v_add_co_ci_u32_e64 v7, null, 0, v6, vcc_lo
	v_mul_lo_u32 v9, s3, v8
	v_mad_u64_u32 v[5:6], null, s2, v8, 0
	v_mul_lo_u32 v10, s2, v7
	v_sub_co_u32 v5, vcc_lo, v0, v5
	v_add3_u32 v6, v6, v10, v9
	v_add_co_u32 v10, s0, v8, 2
	v_add_co_ci_u32_e64 v11, null, 0, v7, s0
	v_sub_nc_u32_e32 v9, v1, v6
	v_sub_co_u32 v15, s0, v5, s2
	v_sub_co_ci_u32_e64 v6, null, v1, v6, vcc_lo
	v_subrev_co_ci_u32_e64 v9, null, s3, v9, vcc_lo
	v_cmp_le_u32_e32 vcc_lo, s2, v15
	v_subrev_co_ci_u32_e64 v9, null, 0, v9, s0
	v_cndmask_b32_e64 v15, 0, -1, vcc_lo
	v_cmp_eq_u32_e64 s0, s3, v6
	v_cmp_le_u32_e32 vcc_lo, s3, v9
	v_cndmask_b32_e64 v16, 0, -1, vcc_lo
	v_cmp_le_u32_e32 vcc_lo, s2, v5
	v_cndmask_b32_e64 v5, 0, -1, vcc_lo
	;; [unrolled: 2-line block ×3, first 2 shown]
	v_cmp_eq_u32_e32 vcc_lo, s3, v9
	v_cndmask_b32_e64 v5, v17, v5, s0
	v_cndmask_b32_e32 v9, v16, v15, vcc_lo
	v_add_co_u32 v15, vcc_lo, v8, 1
	v_add_co_ci_u32_e64 v16, null, 0, v7, vcc_lo
	v_cmp_ne_u32_e32 vcc_lo, 0, v9
	v_cndmask_b32_e32 v6, v16, v11, vcc_lo
	v_cndmask_b32_e32 v9, v15, v10, vcc_lo
	v_cmp_ne_u32_e32 vcc_lo, 0, v5
	v_cndmask_b32_e32 v7, v7, v6, vcc_lo
	v_cndmask_b32_e32 v6, v8, v9, vcc_lo
.LBB28_5:                               ;   in Loop: Header=BB28_3 Depth=1
	s_andn2_saveexec_b32 s0, s21
	s_cbranch_execz .LBB28_7
; %bb.6:                                ;   in Loop: Header=BB28_3 Depth=1
	v_mul_hi_u32 v5, v0, v14
	v_mul_lo_u32 v6, v5, s2
	v_add_nc_u32_e32 v7, 1, v5
	v_sub_nc_u32_e32 v6, v0, v6
	v_subrev_nc_u32_e32 v8, s2, v6
	v_cmp_le_u32_e32 vcc_lo, s2, v6
	v_cndmask_b32_e32 v6, v6, v8, vcc_lo
	v_cndmask_b32_e32 v5, v5, v7, vcc_lo
	v_cmp_le_u32_e32 vcc_lo, s2, v6
	v_add_nc_u32_e32 v7, 1, v5
	v_cndmask_b32_e32 v6, v5, v7, vcc_lo
	v_mov_b32_e32 v7, v4
.LBB28_7:                               ;   in Loop: Header=BB28_3 Depth=1
	s_or_b32 exec_lo, exec_lo, s0
	v_mul_lo_u32 v5, v7, s2
	v_mul_lo_u32 v10, v6, s3
	v_mad_u64_u32 v[8:9], null, v6, s2, 0
	s_cmpk_lt_i32 s10, 0x7a
	v_add3_u32 v5, v9, v10, v5
	v_sub_co_u32 v8, vcc_lo, v0, v8
	v_sub_co_ci_u32_e64 v9, null, v1, v5, vcc_lo
	s_cbranch_scc1 .LBB28_10
; %bb.8:                                ;   in Loop: Header=BB28_3 Depth=1
	s_mov_b32 s0, 0
	s_cmpk_eq_i32 s10, 0x7a
	s_mov_b32 s21, 0
                                        ; implicit-def: $vgpr10_vgpr11
	s_cbranch_scc0 .LBB28_11
; %bb.9:                                ;   in Loop: Header=BB28_3 Depth=1
	v_lshlrev_b64 v[10:11], 3, v[8:9]
	s_mov_b32 s21, -1
	v_sub_co_u32 v5, vcc_lo, s17, v10
	v_sub_co_ci_u32_e64 v10, null, s18, v11, vcc_lo
	v_cvt_f64_u32_e32 v[15:16], v5
	v_cvt_f64_u32_e32 v[10:11], v10
	v_ldexp_f64 v[10:11], v[10:11], 32
	v_add_f64 v[10:11], v[10:11], v[15:16]
	v_cmp_gt_f64_e32 vcc_lo, 0x10000000, v[10:11]
	v_cndmask_b32_e64 v5, 0, 0x100, vcc_lo
	v_ldexp_f64 v[10:11], v[10:11], v5
	v_cndmask_b32_e64 v5, 0, 0xffffff80, vcc_lo
	v_rsq_f64_e32 v[15:16], v[10:11]
	v_cmp_class_f64_e64 vcc_lo, v[10:11], 0x260
	v_mul_f64 v[17:18], v[10:11], v[15:16]
	v_mul_f64 v[15:16], v[15:16], 0.5
	v_fma_f64 v[19:20], -v[15:16], v[17:18], 0.5
	v_fma_f64 v[17:18], v[17:18], v[19:20], v[17:18]
	v_fma_f64 v[15:16], v[15:16], v[19:20], v[15:16]
	v_fma_f64 v[19:20], -v[17:18], v[17:18], v[10:11]
	v_fma_f64 v[17:18], v[19:20], v[15:16], v[17:18]
	v_fma_f64 v[19:20], -v[17:18], v[17:18], v[10:11]
	v_fma_f64 v[15:16], v[19:20], v[15:16], v[17:18]
	v_mul_lo_u32 v17, v6, s9
	v_ldexp_f64 v[15:16], v[15:16], v5
	v_mul_lo_u32 v5, v7, s8
	v_cndmask_b32_e32 v11, v16, v11, vcc_lo
	v_cndmask_b32_e32 v10, v15, v10, vcc_lo
	v_fma_f64 v[10:11], v[10:11], 0.5, -0.5
	v_floor_f64_e32 v[10:11], v[10:11]
	v_add_f64 v[10:11], v[2:3], -v[10:11]
	v_trunc_f64_e32 v[10:11], v[10:11]
	v_ldexp_f64 v[15:16], v[10:11], 0xffffffe0
	v_floor_f64_e32 v[15:16], v[15:16]
	v_fma_f64 v[10:11], 0xc1f00000, v[15:16], v[10:11]
	v_cvt_u32_f64_e32 v16, v[15:16]
	v_cvt_u32_f64_e32 v15, v[10:11]
	v_mad_u64_u32 v[10:11], null, v6, s8, 0
	v_add3_u32 v11, v11, v17, v5
	v_mul_lo_u32 v5, v16, s14
	v_lshlrev_b64 v[10:11], 4, v[10:11]
	v_sub_co_u32 v21, vcc_lo, s11, v15
	v_sub_co_ci_u32_e64 v22, null, s16, v16, vcc_lo
	v_mul_lo_u32 v23, v15, s15
	v_mad_u64_u32 v[17:18], null, v15, s14, 0
	v_add_co_u32 v24, vcc_lo, v21, -1
	v_add_co_ci_u32_e64 v25, null, -1, v22, vcc_lo
	v_sub_co_u32 v19, vcc_lo, v8, s4
	v_add3_u32 v18, v18, v23, v5
	v_mul_lo_u32 v5, v25, v21
	v_mul_lo_u32 v23, v24, v22
	v_mad_u64_u32 v[21:22], null, v24, v21, 0
	v_subrev_co_ci_u32_e64 v20, null, s5, v9, vcc_lo
	v_lshlrev_b64 v[17:18], 4, v[17:18]
	v_add_co_u32 v10, vcc_lo, s1, v10
	v_add_co_ci_u32_e64 v11, null, s6, v11, vcc_lo
	v_lshlrev_b64 v[19:20], 4, v[19:20]
	v_add3_u32 v22, v22, v23, v5
	v_add_co_u32 v5, vcc_lo, v10, v17
	v_add_co_ci_u32_e64 v17, null, v11, v18, vcc_lo
	v_lshlrev_b64 v[10:11], 3, v[21:22]
	v_lshlrev_b64 v[15:16], 4, v[15:16]
	v_add_co_u32 v5, vcc_lo, v5, v19
	v_add_co_ci_u32_e64 v17, null, v17, v20, vcc_lo
	v_and_b32_e32 v10, -16, v10
	v_add_co_u32 v5, vcc_lo, v5, v15
	v_add_co_ci_u32_e64 v16, null, v17, v16, vcc_lo
	v_add_co_u32 v15, vcc_lo, v5, v10
	v_add_co_ci_u32_e64 v16, null, v16, v11, vcc_lo
	v_mov_b32_e32 v5, v4
	v_add_co_u32 v10, vcc_lo, v15, 16
	v_add_co_ci_u32_e64 v11, null, 0, v16, vcc_lo
	flat_store_dwordx2 v[15:16], v[4:5] offset:16
	s_branch .LBB28_11
.LBB28_10:                              ;   in Loop: Header=BB28_3 Depth=1
	s_mov_b32 s0, -1
	s_mov_b32 s21, 0
                                        ; implicit-def: $vgpr10_vgpr11
.LBB28_11:                              ;   in Loop: Header=BB28_3 Depth=1
	s_and_b32 vcc_lo, exec_lo, s0
	s_cbranch_vccz .LBB28_14
; %bb.12:                               ;   in Loop: Header=BB28_3 Depth=1
	s_cmpk_eq_i32 s10, 0x79
                                        ; implicit-def: $vgpr10_vgpr11
	s_cbranch_scc0 .LBB28_14
; %bb.13:                               ;   in Loop: Header=BB28_3 Depth=1
	v_lshlrev_b64 v[10:11], 3, v[8:9]
	v_mul_lo_u32 v7, v7, s8
	s_mov_b32 s21, -1
	v_cvt_f64_u32_e32 v[15:16], v11
	v_or_b32_e32 v5, 1, v10
	v_cvt_f64_u32_e32 v[10:11], v5
	v_ldexp_f64 v[15:16], v[15:16], 32
	v_add_f64 v[10:11], v[15:16], v[10:11]
	v_cmp_gt_f64_e32 vcc_lo, 0x10000000, v[10:11]
	v_cndmask_b32_e64 v5, 0, 0x100, vcc_lo
	v_ldexp_f64 v[10:11], v[10:11], v5
	v_cndmask_b32_e64 v5, 0, 0xffffff80, vcc_lo
	v_rsq_f64_e32 v[15:16], v[10:11]
	v_cmp_class_f64_e64 vcc_lo, v[10:11], 0x260
	v_mul_f64 v[17:18], v[10:11], v[15:16]
	v_mul_f64 v[15:16], v[15:16], 0.5
	v_fma_f64 v[19:20], -v[15:16], v[17:18], 0.5
	v_fma_f64 v[17:18], v[17:18], v[19:20], v[17:18]
	v_fma_f64 v[15:16], v[15:16], v[19:20], v[15:16]
	v_fma_f64 v[19:20], -v[17:18], v[17:18], v[10:11]
	v_fma_f64 v[17:18], v[19:20], v[15:16], v[17:18]
	v_fma_f64 v[19:20], -v[17:18], v[17:18], v[10:11]
	v_fma_f64 v[15:16], v[19:20], v[15:16], v[17:18]
	v_mul_lo_u32 v17, v6, s9
	v_ldexp_f64 v[15:16], v[15:16], v5
	v_mad_u64_u32 v[5:6], null, v6, s8, 0
	v_add3_u32 v6, v6, v17, v7
	v_lshlrev_b64 v[5:6], 4, v[5:6]
	v_cndmask_b32_e32 v11, v16, v11, vcc_lo
	v_cndmask_b32_e32 v10, v15, v10, vcc_lo
	v_add_f64 v[10:11], v[10:11], -1.0
	v_mul_f64 v[10:11], v[10:11], 0.5
	v_trunc_f64_e32 v[10:11], v[10:11]
	v_ldexp_f64 v[15:16], v[10:11], 0xffffffe0
	v_floor_f64_e32 v[15:16], v[15:16]
	v_fma_f64 v[10:11], 0xc1f00000, v[15:16], v[10:11]
	v_cvt_u32_f64_e32 v16, v[15:16]
	v_cvt_u32_f64_e32 v15, v[10:11]
	v_mul_lo_u32 v19, s14, v16
	v_mad_u64_u32 v[10:11], null, v15, v15, v[15:16]
	v_mul_lo_u32 v18, v15, v16
	v_mul_lo_u32 v20, s15, v15
	v_mad_u64_u32 v[15:16], null, s14, v15, s[14:15]
	v_add3_u32 v11, v18, v11, v18
	v_add3_u32 v16, v20, v16, v19
	v_lshrrev_b64 v[10:11], 1, v[10:11]
	v_lshlrev_b64 v[15:16], 4, v[15:16]
	v_sub_co_u32 v7, vcc_lo, v8, v10
	v_sub_co_ci_u32_e64 v8, null, v9, v11, vcc_lo
	v_add_co_u32 v9, vcc_lo, s1, v5
	v_add_co_ci_u32_e64 v10, null, s6, v6, vcc_lo
	v_lshlrev_b64 v[5:6], 4, v[7:8]
	v_add_co_u32 v7, vcc_lo, v9, v15
	v_add_co_ci_u32_e64 v8, null, v10, v16, vcc_lo
	v_add_co_u32 v10, vcc_lo, v7, v5
	v_add_co_ci_u32_e64 v11, null, v8, v6, vcc_lo
	v_mov_b32_e32 v5, v4
	flat_store_dwordx2 v[10:11], v[4:5]
.LBB28_14:                              ;   in Loop: Header=BB28_3 Depth=1
	s_and_b32 vcc_lo, exec_lo, s21
	s_cbranch_vccz .LBB28_2
; %bb.15:                               ;   in Loop: Header=BB28_3 Depth=1
	v_mov_b32_e32 v5, v4
	flat_store_dwordx2 v[10:11], v[4:5] offset:8
	s_branch .LBB28_2
.LBB28_16:
	s_endpgm
	.section	.rodata,"a",@progbits
	.p2align	6, 0x0
	.amdhsa_kernel _ZL18rocblas_trtri_fillILi128E19rocblas_complex_numIdEPKPS1_EvP15_rocblas_handle13rocblas_fill_ililT1_llii
		.amdhsa_group_segment_fixed_size 0
		.amdhsa_private_segment_fixed_size 0
		.amdhsa_kernarg_size 328
		.amdhsa_user_sgpr_count 6
		.amdhsa_user_sgpr_private_segment_buffer 1
		.amdhsa_user_sgpr_dispatch_ptr 0
		.amdhsa_user_sgpr_queue_ptr 0
		.amdhsa_user_sgpr_kernarg_segment_ptr 1
		.amdhsa_user_sgpr_dispatch_id 0
		.amdhsa_user_sgpr_flat_scratch_init 0
		.amdhsa_user_sgpr_private_segment_size 0
		.amdhsa_wavefront_size32 1
		.amdhsa_uses_dynamic_stack 0
		.amdhsa_system_sgpr_private_segment_wavefront_offset 0
		.amdhsa_system_sgpr_workgroup_id_x 1
		.amdhsa_system_sgpr_workgroup_id_y 0
		.amdhsa_system_sgpr_workgroup_id_z 1
		.amdhsa_system_sgpr_workgroup_info 0
		.amdhsa_system_vgpr_workitem_id 0
		.amdhsa_next_free_vgpr 26
		.amdhsa_next_free_sgpr 31
		.amdhsa_reserve_vcc 1
		.amdhsa_reserve_flat_scratch 0
		.amdhsa_float_round_mode_32 0
		.amdhsa_float_round_mode_16_64 0
		.amdhsa_float_denorm_mode_32 3
		.amdhsa_float_denorm_mode_16_64 3
		.amdhsa_dx10_clamp 1
		.amdhsa_ieee_mode 1
		.amdhsa_fp16_overflow 0
		.amdhsa_workgroup_processor_mode 1
		.amdhsa_memory_ordered 1
		.amdhsa_forward_progress 1
		.amdhsa_shared_vgpr_count 0
		.amdhsa_exception_fp_ieee_invalid_op 0
		.amdhsa_exception_fp_denorm_src 0
		.amdhsa_exception_fp_ieee_div_zero 0
		.amdhsa_exception_fp_ieee_overflow 0
		.amdhsa_exception_fp_ieee_underflow 0
		.amdhsa_exception_fp_ieee_inexact 0
		.amdhsa_exception_int_div_zero 0
	.end_amdhsa_kernel
	.section	.text._ZL18rocblas_trtri_fillILi128E19rocblas_complex_numIdEPKPS1_EvP15_rocblas_handle13rocblas_fill_ililT1_llii,"axG",@progbits,_ZL18rocblas_trtri_fillILi128E19rocblas_complex_numIdEPKPS1_EvP15_rocblas_handle13rocblas_fill_ililT1_llii,comdat
.Lfunc_end28:
	.size	_ZL18rocblas_trtri_fillILi128E19rocblas_complex_numIdEPKPS1_EvP15_rocblas_handle13rocblas_fill_ililT1_llii, .Lfunc_end28-_ZL18rocblas_trtri_fillILi128E19rocblas_complex_numIdEPKPS1_EvP15_rocblas_handle13rocblas_fill_ililT1_llii
                                        ; -- End function
	.set _ZL18rocblas_trtri_fillILi128E19rocblas_complex_numIdEPKPS1_EvP15_rocblas_handle13rocblas_fill_ililT1_llii.num_vgpr, 26
	.set _ZL18rocblas_trtri_fillILi128E19rocblas_complex_numIdEPKPS1_EvP15_rocblas_handle13rocblas_fill_ililT1_llii.num_agpr, 0
	.set _ZL18rocblas_trtri_fillILi128E19rocblas_complex_numIdEPKPS1_EvP15_rocblas_handle13rocblas_fill_ililT1_llii.numbered_sgpr, 31
	.set _ZL18rocblas_trtri_fillILi128E19rocblas_complex_numIdEPKPS1_EvP15_rocblas_handle13rocblas_fill_ililT1_llii.num_named_barrier, 0
	.set _ZL18rocblas_trtri_fillILi128E19rocblas_complex_numIdEPKPS1_EvP15_rocblas_handle13rocblas_fill_ililT1_llii.private_seg_size, 0
	.set _ZL18rocblas_trtri_fillILi128E19rocblas_complex_numIdEPKPS1_EvP15_rocblas_handle13rocblas_fill_ililT1_llii.uses_vcc, 1
	.set _ZL18rocblas_trtri_fillILi128E19rocblas_complex_numIdEPKPS1_EvP15_rocblas_handle13rocblas_fill_ililT1_llii.uses_flat_scratch, 0
	.set _ZL18rocblas_trtri_fillILi128E19rocblas_complex_numIdEPKPS1_EvP15_rocblas_handle13rocblas_fill_ililT1_llii.has_dyn_sized_stack, 0
	.set _ZL18rocblas_trtri_fillILi128E19rocblas_complex_numIdEPKPS1_EvP15_rocblas_handle13rocblas_fill_ililT1_llii.has_recursion, 0
	.set _ZL18rocblas_trtri_fillILi128E19rocblas_complex_numIdEPKPS1_EvP15_rocblas_handle13rocblas_fill_ililT1_llii.has_indirect_call, 0
	.section	.AMDGPU.csdata,"",@progbits
; Kernel info:
; codeLenInByte = 2084
; TotalNumSgprs: 33
; NumVgprs: 26
; ScratchSize: 0
; MemoryBound: 0
; FloatMode: 240
; IeeeMode: 1
; LDSByteSize: 0 bytes/workgroup (compile time only)
; SGPRBlocks: 0
; VGPRBlocks: 3
; NumSGPRsForWavesPerEU: 33
; NumVGPRsForWavesPerEU: 26
; Occupancy: 16
; WaveLimiterHint : 1
; COMPUTE_PGM_RSRC2:SCRATCH_EN: 0
; COMPUTE_PGM_RSRC2:USER_SGPR: 6
; COMPUTE_PGM_RSRC2:TRAP_HANDLER: 0
; COMPUTE_PGM_RSRC2:TGID_X_EN: 1
; COMPUTE_PGM_RSRC2:TGID_Y_EN: 0
; COMPUTE_PGM_RSRC2:TGID_Z_EN: 1
; COMPUTE_PGM_RSRC2:TIDIG_COMP_CNT: 0
	.section	.text._ZL26rocblas_trtri_small_kernelILi16E19rocblas_complex_numIdEPKPKS1_PKPS1_Ev13rocblas_fill_17rocblas_diagonal_iT1_lillT2_lilli,"axG",@progbits,_ZL26rocblas_trtri_small_kernelILi16E19rocblas_complex_numIdEPKPKS1_PKPS1_Ev13rocblas_fill_17rocblas_diagonal_iT1_lillT2_lilli,comdat
	.globl	_ZL26rocblas_trtri_small_kernelILi16E19rocblas_complex_numIdEPKPKS1_PKPS1_Ev13rocblas_fill_17rocblas_diagonal_iT1_lillT2_lilli ; -- Begin function _ZL26rocblas_trtri_small_kernelILi16E19rocblas_complex_numIdEPKPKS1_PKPS1_Ev13rocblas_fill_17rocblas_diagonal_iT1_lillT2_lilli
	.p2align	8
	.type	_ZL26rocblas_trtri_small_kernelILi16E19rocblas_complex_numIdEPKPKS1_PKPS1_Ev13rocblas_fill_17rocblas_diagonal_iT1_lillT2_lilli,@function
_ZL26rocblas_trtri_small_kernelILi16E19rocblas_complex_numIdEPKPKS1_PKPS1_Ev13rocblas_fill_17rocblas_diagonal_iT1_lillT2_lilli: ; @_ZL26rocblas_trtri_small_kernelILi16E19rocblas_complex_numIdEPKPKS1_PKPS1_Ev13rocblas_fill_17rocblas_diagonal_iT1_lillT2_lilli
; %bb.0:
	s_load_dwordx4 s[8:11], s[4:5], 0x0
	s_waitcnt lgkmcnt(0)
	s_cmp_lt_i32 s10, 1
	s_cbranch_scc1 .LBB29_41
; %bb.1:
	s_clause 0x1
	s_load_dwordx4 s[16:19], s[4:5], 0x30
	s_load_dwordx2 s[20:21], s[4:5], 0x40
	s_mov_b32 s0, s7
	s_mov_b32 s1, 0
	s_lshl_b64 s[2:3], s[0:1], 3
	s_waitcnt lgkmcnt(0)
	s_add_u32 s0, s18, s2
	s_addc_u32 s1, s19, s3
	s_load_dwordx2 s[18:19], s[0:1], 0x0
	v_cmp_le_u32_e64 s1, s10, v0
	v_cmp_gt_u32_e64 s0, s10, v0
	s_and_saveexec_b32 s7, s0
	s_cbranch_execz .LBB29_9
; %bb.2:
	s_clause 0x1
	s_load_dwordx4 s[12:15], s[4:5], 0x10
	s_load_dword s22, s[4:5], 0x20
	s_waitcnt lgkmcnt(0)
	s_add_u32 s2, s12, s2
	s_addc_u32 s3, s13, s3
	s_load_dwordx2 s[12:13], s[2:3], 0x0
	s_mul_i32 s2, s17, s6
	s_mul_hi_u32 s3, s16, s6
	s_mul_i32 s16, s16, s6
	s_add_i32 s17, s3, s2
	s_cmpk_lg_i32 s8, 0x7a
	s_mov_b32 s2, -1
	s_cbranch_scc0 .LBB29_6
; %bb.3:
	s_add_i32 s2, s10, -1
	s_ashr_i32 s23, s22, 31
	s_mul_hi_u32 s11, s22, s2
	s_mul_i32 s3, s23, s2
	v_sub_nc_u32_e32 v1, s2, v0
	s_add_i32 s3, s11, s3
	s_mul_i32 s2, s22, s2
	s_lshl_b64 s[24:25], s[16:17], 4
	s_lshl_b64 s[26:27], s[2:3], 4
	s_lshl_b32 s3, s10, 4
	s_add_u32 s2, s24, s26
	s_addc_u32 s11, s25, s27
	s_lshl_b64 s[24:25], s[14:15], 4
	v_lshlrev_b32_e32 v3, 4, v1
	v_lshlrev_b32_e32 v1, 4, v0
	s_add_u32 s2, s2, s24
	s_addc_u32 s11, s11, s25
	s_waitcnt lgkmcnt(0)
	s_add_u32 s2, s12, s2
	s_addc_u32 s11, s13, s11
	v_add_co_u32 v1, s2, s2, v1
	s_lshl_b64 s[24:25], s[22:23], 4
	v_add_co_ci_u32_e64 v2, null, s11, 0, s2
	s_sub_u32 s11, 0, s24
	s_subb_u32 s24, 0, s25
	s_mov_b32 s23, 0
	s_mov_b32 s25, s10
.LBB29_4:                               ; =>This Inner Loop Header: Depth=1
	flat_load_dwordx4 v[4:7], v[1:2]
	s_add_i32 s25, s25, -1
	v_add_co_u32 v1, vcc_lo, v1, s11
	v_cmp_le_u32_e64 s2, s25, v0
	v_add_co_ci_u32_e64 v2, null, s24, v2, vcc_lo
	s_or_b32 s23, s2, s23
	s_waitcnt vmcnt(0) lgkmcnt(0)
	ds_write2_b64 v3, v[4:5], v[6:7] offset1:1
	v_add_nc_u32_e32 v3, s3, v3
	s_andn2_b32 exec_lo, exec_lo, s23
	s_cbranch_execnz .LBB29_4
; %bb.5:
	s_or_b32 exec_lo, exec_lo, s23
	s_mov_b32 s2, 0
.LBB29_6:
	s_and_b32 vcc_lo, exec_lo, s2
	s_cbranch_vccz .LBB29_9
; %bb.7:
	s_lshl_b64 s[2:3], s[14:15], 4
	v_lshlrev_b32_e32 v3, 4, v0
	s_waitcnt lgkmcnt(0)
	s_add_u32 s11, s12, s2
	s_addc_u32 s12, s13, s3
	s_lshl_b64 s[2:3], s[16:17], 4
	v_add_nc_u32_e32 v4, 1, v0
	s_add_u32 s2, s11, s2
	s_addc_u32 s3, s12, s3
	v_add_co_u32 v1, s2, s2, v3
	v_add_co_ci_u32_e64 v2, null, s3, 0, s2
	s_ashr_i32 s23, s22, 31
	s_lshl_b32 s3, s10, 4
	s_lshl_b64 s[12:13], s[22:23], 4
	s_mov_b32 s11, 0
.LBB29_8:                               ; =>This Inner Loop Header: Depth=1
	flat_load_dwordx4 v[5:8], v[1:2]
	v_add_nc_u32_e32 v4, -1, v4
	v_add_co_u32 v1, vcc_lo, v1, s12
	v_add_co_ci_u32_e64 v2, null, s13, v2, vcc_lo
	v_cmp_eq_u32_e64 s2, 0, v4
	s_or_b32 s11, s2, s11
	s_waitcnt vmcnt(0) lgkmcnt(0)
	ds_write2_b64 v3, v[5:6], v[7:8] offset1:1
	v_add_nc_u32_e32 v3, s3, v3
	s_andn2_b32 exec_lo, exec_lo, s11
	s_cbranch_execnz .LBB29_8
.LBB29_9:
	s_or_b32 exec_lo, exec_lo, s7
	s_waitcnt lgkmcnt(0)
	; wave barrier
	buffer_gl0_inv
                                        ; implicit-def: $vgpr9
	s_and_saveexec_b32 s2, s1
	s_xor_b32 s1, exec_lo, s2
; %bb.10:
	v_mad_u64_u32 v[9:10], null, v0, s10, v[0:1]
; %bb.11:
	s_andn2_saveexec_b32 s2, s1
	s_cbranch_execz .LBB29_22
; %bb.12:
	v_mad_u64_u32 v[9:10], null, v0, s10, v[0:1]
	s_cmpk_eq_i32 s9, 0x84
	v_lshlrev_b32_e32 v10, 4, v9
	s_cbranch_scc1 .LBB29_20
; %bb.13:
	ds_read_b128 v[1:4], v10
	v_mov_b32_e32 v7, 0
	v_mov_b32_e32 v5, 0
	;; [unrolled: 1-line block ×4, first 2 shown]
	s_waitcnt lgkmcnt(0)
	v_cmp_neq_f64_e32 vcc_lo, 0, v[1:2]
	v_cmp_neq_f64_e64 s1, 0, v[3:4]
	s_or_b32 s3, vcc_lo, s1
	s_and_saveexec_b32 s1, s3
	s_cbranch_execz .LBB29_19
; %bb.14:
	v_cmp_ngt_f64_e64 s3, |v[1:2]|, |v[3:4]|
                                        ; implicit-def: $vgpr7_vgpr8
	s_and_saveexec_b32 s7, s3
	s_xor_b32 s3, exec_lo, s7
	s_cbranch_execz .LBB29_16
; %bb.15:
	v_div_scale_f64 v[5:6], null, v[3:4], v[3:4], v[1:2]
	v_div_scale_f64 v[13:14], vcc_lo, v[1:2], v[3:4], v[1:2]
	v_rcp_f64_e32 v[7:8], v[5:6]
	v_fma_f64 v[11:12], -v[5:6], v[7:8], 1.0
	v_fma_f64 v[7:8], v[7:8], v[11:12], v[7:8]
	v_fma_f64 v[11:12], -v[5:6], v[7:8], 1.0
	v_fma_f64 v[7:8], v[7:8], v[11:12], v[7:8]
	v_mul_f64 v[11:12], v[13:14], v[7:8]
	v_fma_f64 v[5:6], -v[5:6], v[11:12], v[13:14]
	v_div_fmas_f64 v[5:6], v[5:6], v[7:8], v[11:12]
	v_div_fixup_f64 v[5:6], v[5:6], v[3:4], v[1:2]
	v_fma_f64 v[1:2], v[1:2], v[5:6], v[3:4]
	v_div_scale_f64 v[3:4], null, v[1:2], v[1:2], 1.0
	v_rcp_f64_e32 v[7:8], v[3:4]
	v_fma_f64 v[11:12], -v[3:4], v[7:8], 1.0
	v_fma_f64 v[7:8], v[7:8], v[11:12], v[7:8]
	v_fma_f64 v[11:12], -v[3:4], v[7:8], 1.0
	v_fma_f64 v[7:8], v[7:8], v[11:12], v[7:8]
	v_div_scale_f64 v[11:12], vcc_lo, 1.0, v[1:2], 1.0
	v_mul_f64 v[13:14], v[11:12], v[7:8]
	v_fma_f64 v[3:4], -v[3:4], v[13:14], v[11:12]
	v_div_fmas_f64 v[3:4], v[3:4], v[7:8], v[13:14]
	v_div_fixup_f64 v[7:8], v[3:4], v[1:2], 1.0
                                        ; implicit-def: $vgpr1_vgpr2
	v_mul_f64 v[5:6], v[5:6], v[7:8]
	v_xor_b32_e32 v8, 0x80000000, v8
.LBB29_16:
	s_andn2_saveexec_b32 s3, s3
	s_cbranch_execz .LBB29_18
; %bb.17:
	v_div_scale_f64 v[5:6], null, v[1:2], v[1:2], v[3:4]
	v_div_scale_f64 v[13:14], vcc_lo, v[3:4], v[1:2], v[3:4]
	v_rcp_f64_e32 v[7:8], v[5:6]
	v_fma_f64 v[11:12], -v[5:6], v[7:8], 1.0
	v_fma_f64 v[7:8], v[7:8], v[11:12], v[7:8]
	v_fma_f64 v[11:12], -v[5:6], v[7:8], 1.0
	v_fma_f64 v[7:8], v[7:8], v[11:12], v[7:8]
	v_mul_f64 v[11:12], v[13:14], v[7:8]
	v_fma_f64 v[5:6], -v[5:6], v[11:12], v[13:14]
	v_div_fmas_f64 v[5:6], v[5:6], v[7:8], v[11:12]
	v_div_fixup_f64 v[7:8], v[5:6], v[1:2], v[3:4]
	v_fma_f64 v[1:2], v[3:4], v[7:8], v[1:2]
	v_div_scale_f64 v[3:4], null, v[1:2], v[1:2], 1.0
	v_rcp_f64_e32 v[5:6], v[3:4]
	v_fma_f64 v[11:12], -v[3:4], v[5:6], 1.0
	v_fma_f64 v[5:6], v[5:6], v[11:12], v[5:6]
	v_fma_f64 v[11:12], -v[3:4], v[5:6], 1.0
	v_fma_f64 v[5:6], v[5:6], v[11:12], v[5:6]
	v_div_scale_f64 v[11:12], vcc_lo, 1.0, v[1:2], 1.0
	v_mul_f64 v[13:14], v[11:12], v[5:6]
	v_fma_f64 v[3:4], -v[3:4], v[13:14], v[11:12]
	v_div_fmas_f64 v[3:4], v[3:4], v[5:6], v[13:14]
	v_div_fixup_f64 v[5:6], v[3:4], v[1:2], 1.0
	v_mul_f64 v[7:8], v[7:8], -v[5:6]
.LBB29_18:
	s_or_b32 exec_lo, exec_lo, s3
.LBB29_19:
	s_or_b32 exec_lo, exec_lo, s1
	s_branch .LBB29_21
.LBB29_20:
	v_mov_b32_e32 v7, 0
	v_mov_b32_e32 v5, 0
	;; [unrolled: 1-line block ×4, first 2 shown]
.LBB29_21:
	ds_write_b128 v10, v[5:8]
.LBB29_22:
	s_or_b32 exec_lo, exec_lo, s2
	v_lshlrev_b32_e32 v5, 4, v0
	s_lshl_b32 s1, s10, 4
	v_lshlrev_b32_e32 v6, 4, v9
	s_mov_b32 s2, 16
	s_add_i32 s3, s1, 16
	v_add_nc_u32_e32 v7, s1, v5
	s_mov_b32 s7, 0
	s_waitcnt lgkmcnt(0)
	; wave barrier
	buffer_gl0_inv
	s_branch .LBB29_24
.LBB29_23:                              ;   in Loop: Header=BB29_24 Depth=1
	s_inst_prefetch 0x2
	v_add_nc_u32_e32 v7, s1, v7
	s_add_i32 s2, s2, s3
	s_cmp_eq_u32 s7, s10
	; wave barrier
	buffer_gl0_inv
	s_cbranch_scc1 .LBB29_33
.LBB29_24:                              ; =>This Loop Header: Depth=1
                                        ;     Child Loop BB29_29 Depth 2
	v_mov_b32_e32 v1, 0
	v_mov_b32_e32 v3, 0
	;; [unrolled: 1-line block ×4, first 2 shown]
	s_mul_i32 s9, s7, s10
	s_mov_b32 s11, exec_lo
	v_cmpx_lt_u32_e64 s7, v0
	s_cbranch_execz .LBB29_26
; %bb.25:                               ;   in Loop: Header=BB29_24 Depth=1
	s_lshl_b32 s12, s9, 4
	s_lshl_b32 s13, s7, 4
	v_add_nc_u32_e32 v8, s12, v5
	s_add_i32 s13, s13, s12
	v_mov_b32_e32 v1, s13
	ds_read_b128 v[1:4], v1
	ds_read_b128 v[8:11], v8
	s_waitcnt lgkmcnt(0)
	v_mul_f64 v[12:13], v[3:4], v[10:11]
	v_mul_f64 v[10:11], v[1:2], v[10:11]
	v_fma_f64 v[1:2], v[1:2], v[8:9], -v[12:13]
	v_fma_f64 v[3:4], v[3:4], v[8:9], v[10:11]
	v_add_f64 v[1:2], v[1:2], 0
	v_add_f64 v[3:4], v[3:4], 0
.LBB29_26:                              ;   in Loop: Header=BB29_24 Depth=1
	s_or_b32 exec_lo, exec_lo, s11
	s_add_i32 s7, s7, 1
	s_cmp_ge_i32 s7, s10
	; wave barrier
	buffer_gl0_inv
	s_cbranch_scc1 .LBB29_23
; %bb.27:                               ;   in Loop: Header=BB29_24 Depth=1
	v_lshl_add_u32 v8, s9, 4, v5
	v_mov_b32_e32 v9, v7
	s_mov_b32 s9, s2
	s_mov_b32 s11, s7
	s_inst_prefetch 0x1
	s_branch .LBB29_29
	.p2align	6
.LBB29_28:                              ;   in Loop: Header=BB29_29 Depth=2
	s_or_b32 exec_lo, exec_lo, s12
	v_add_nc_u32_e32 v9, s1, v9
	s_add_i32 s11, s11, 1
	s_add_i32 s9, s9, 16
	s_cmp_eq_u32 s10, s11
	; wave barrier
	buffer_gl0_inv
	s_cbranch_scc1 .LBB29_23
.LBB29_29:                              ;   Parent Loop BB29_24 Depth=1
                                        ; =>  This Inner Loop Header: Depth=2
	s_mov_b32 s12, exec_lo
	v_cmpx_eq_u32_e64 s11, v0
	s_cbranch_execz .LBB29_31
; %bb.30:                               ;   in Loop: Header=BB29_29 Depth=2
	ds_read_b128 v[10:13], v6
	v_add_f64 v[14:15], -v[1:2], 0
	s_waitcnt lgkmcnt(0)
	v_mul_f64 v[16:17], v[3:4], v[12:13]
	v_mul_f64 v[18:19], v[3:4], v[10:11]
	v_fma_f64 v[10:11], v[14:15], v[10:11], v[16:17]
	v_fma_f64 v[12:13], v[14:15], v[12:13], -v[18:19]
	ds_write_b128 v8, v[10:13]
.LBB29_31:                              ;   in Loop: Header=BB29_29 Depth=2
	s_or_b32 exec_lo, exec_lo, s12
	s_mov_b32 s12, exec_lo
	s_waitcnt lgkmcnt(0)
	; wave barrier
	buffer_gl0_inv
	v_cmpx_lt_u32_e64 s11, v0
	s_cbranch_execz .LBB29_28
; %bb.32:                               ;   in Loop: Header=BB29_29 Depth=2
	v_mov_b32_e32 v14, s9
	ds_read_b128 v[10:13], v9
	ds_read_b128 v[14:17], v14
	s_waitcnt lgkmcnt(0)
	v_mul_f64 v[18:19], v[16:17], v[12:13]
	v_mul_f64 v[12:13], v[14:15], v[12:13]
	v_fma_f64 v[14:15], v[14:15], v[10:11], -v[18:19]
	v_fma_f64 v[10:11], v[16:17], v[10:11], v[12:13]
	v_add_f64 v[1:2], v[1:2], v[14:15]
	v_add_f64 v[3:4], v[3:4], v[10:11]
	s_branch .LBB29_28
.LBB29_33:
	s_and_saveexec_b32 s2, s0
	s_cbranch_execz .LBB29_41
; %bb.34:
	s_clause 0x1
	s_load_dwordx2 s[12:13], s[4:5], 0x58
	s_load_dword s2, s[4:5], 0x48
	s_waitcnt lgkmcnt(0)
	s_mul_i32 s0, s13, s6
	s_mul_hi_u32 s3, s12, s6
	s_mul_i32 s4, s12, s6
	s_add_i32 s5, s3, s0
	s_cmpk_lg_i32 s8, 0x7a
	s_mov_b32 s0, -1
	s_cbranch_scc0 .LBB29_38
; %bb.35:
	s_add_i32 s0, s10, -1
	s_ashr_i32 s3, s2, 31
	s_mul_hi_u32 s7, s2, s0
	s_mul_i32 s6, s3, s0
	v_sub_nc_u32_e32 v1, s0, v0
	s_add_i32 s7, s7, s6
	s_mul_i32 s6, s2, s0
	s_lshl_b64 s[8:9], s[4:5], 4
	s_lshl_b64 s[6:7], s[6:7], 4
	v_lshlrev_b32_e32 v3, 4, v1
	s_add_u32 s0, s8, s6
	s_addc_u32 s8, s9, s7
	s_lshl_b64 s[6:7], s[20:21], 4
	v_lshlrev_b32_e32 v1, 4, v0
	s_add_u32 s0, s0, s6
	s_addc_u32 s6, s8, s7
	s_add_u32 s0, s18, s0
	s_addc_u32 s8, s19, s6
	v_add_co_u32 v1, s0, s0, v1
	s_lshl_b64 s[6:7], s[2:3], 4
	v_add_co_ci_u32_e64 v2, null, s8, 0, s0
	s_sub_u32 s3, 0, s6
	s_subb_u32 s7, 0, s7
	s_mov_b32 s6, 0
.LBB29_36:                              ; =>This Inner Loop Header: Depth=1
	ds_read2_b64 v[6:9], v3 offset1:1
	s_add_i32 s10, s10, -1
	v_add_nc_u32_e32 v3, s1, v3
	v_cmp_le_u32_e32 vcc_lo, s10, v0
	s_or_b32 s6, vcc_lo, s6
	s_waitcnt lgkmcnt(0)
	flat_store_dwordx4 v[1:2], v[6:9]
	v_add_co_u32 v1, s0, v1, s3
	v_add_co_ci_u32_e64 v2, null, s7, v2, s0
	s_andn2_b32 exec_lo, exec_lo, s6
	s_cbranch_execnz .LBB29_36
; %bb.37:
	s_or_b32 exec_lo, exec_lo, s6
	s_mov_b32 s0, 0
.LBB29_38:
	s_and_b32 vcc_lo, exec_lo, s0
	s_cbranch_vccz .LBB29_41
; %bb.39:
	s_lshl_b64 s[6:7], s[20:21], 4
	v_lshlrev_b32_e32 v1, 4, v0
	s_add_u32 s0, s18, s6
	s_addc_u32 s3, s19, s7
	s_lshl_b64 s[4:5], s[4:5], 4
	v_add_nc_u32_e32 v0, 1, v0
	s_add_u32 s0, s0, s4
	s_addc_u32 s4, s3, s5
	v_add_co_u32 v1, s0, s0, v1
	v_add_co_ci_u32_e64 v2, null, s4, 0, s0
	s_ashr_i32 s3, s2, 31
	s_mov_b32 s4, 0
	s_lshl_b64 s[2:3], s[2:3], 4
.LBB29_40:                              ; =>This Inner Loop Header: Depth=1
	ds_read2_b64 v[6:9], v5 offset1:1
	v_add_nc_u32_e32 v0, -1, v0
	v_add_nc_u32_e32 v5, s1, v5
	v_cmp_eq_u32_e32 vcc_lo, 0, v0
	s_or_b32 s4, vcc_lo, s4
	s_waitcnt lgkmcnt(0)
	flat_store_dwordx4 v[1:2], v[6:9]
	v_add_co_u32 v1, s0, v1, s2
	v_add_co_ci_u32_e64 v2, null, s3, v2, s0
	s_andn2_b32 exec_lo, exec_lo, s4
	s_cbranch_execnz .LBB29_40
.LBB29_41:
	s_endpgm
	.section	.rodata,"a",@progbits
	.p2align	6, 0x0
	.amdhsa_kernel _ZL26rocblas_trtri_small_kernelILi16E19rocblas_complex_numIdEPKPKS1_PKPS1_Ev13rocblas_fill_17rocblas_diagonal_iT1_lillT2_lilli
		.amdhsa_group_segment_fixed_size 4096
		.amdhsa_private_segment_fixed_size 0
		.amdhsa_kernarg_size 100
		.amdhsa_user_sgpr_count 6
		.amdhsa_user_sgpr_private_segment_buffer 1
		.amdhsa_user_sgpr_dispatch_ptr 0
		.amdhsa_user_sgpr_queue_ptr 0
		.amdhsa_user_sgpr_kernarg_segment_ptr 1
		.amdhsa_user_sgpr_dispatch_id 0
		.amdhsa_user_sgpr_flat_scratch_init 0
		.amdhsa_user_sgpr_private_segment_size 0
		.amdhsa_wavefront_size32 1
		.amdhsa_uses_dynamic_stack 0
		.amdhsa_system_sgpr_private_segment_wavefront_offset 0
		.amdhsa_system_sgpr_workgroup_id_x 1
		.amdhsa_system_sgpr_workgroup_id_y 0
		.amdhsa_system_sgpr_workgroup_id_z 1
		.amdhsa_system_sgpr_workgroup_info 0
		.amdhsa_system_vgpr_workitem_id 0
		.amdhsa_next_free_vgpr 113
		.amdhsa_next_free_sgpr 28
		.amdhsa_reserve_vcc 1
		.amdhsa_reserve_flat_scratch 0
		.amdhsa_float_round_mode_32 0
		.amdhsa_float_round_mode_16_64 0
		.amdhsa_float_denorm_mode_32 3
		.amdhsa_float_denorm_mode_16_64 3
		.amdhsa_dx10_clamp 1
		.amdhsa_ieee_mode 1
		.amdhsa_fp16_overflow 0
		.amdhsa_workgroup_processor_mode 1
		.amdhsa_memory_ordered 1
		.amdhsa_forward_progress 1
		.amdhsa_shared_vgpr_count 0
		.amdhsa_exception_fp_ieee_invalid_op 0
		.amdhsa_exception_fp_denorm_src 0
		.amdhsa_exception_fp_ieee_div_zero 0
		.amdhsa_exception_fp_ieee_overflow 0
		.amdhsa_exception_fp_ieee_underflow 0
		.amdhsa_exception_fp_ieee_inexact 0
		.amdhsa_exception_int_div_zero 0
	.end_amdhsa_kernel
	.section	.text._ZL26rocblas_trtri_small_kernelILi16E19rocblas_complex_numIdEPKPKS1_PKPS1_Ev13rocblas_fill_17rocblas_diagonal_iT1_lillT2_lilli,"axG",@progbits,_ZL26rocblas_trtri_small_kernelILi16E19rocblas_complex_numIdEPKPKS1_PKPS1_Ev13rocblas_fill_17rocblas_diagonal_iT1_lillT2_lilli,comdat
.Lfunc_end29:
	.size	_ZL26rocblas_trtri_small_kernelILi16E19rocblas_complex_numIdEPKPKS1_PKPS1_Ev13rocblas_fill_17rocblas_diagonal_iT1_lillT2_lilli, .Lfunc_end29-_ZL26rocblas_trtri_small_kernelILi16E19rocblas_complex_numIdEPKPKS1_PKPS1_Ev13rocblas_fill_17rocblas_diagonal_iT1_lillT2_lilli
                                        ; -- End function
	.set _ZL26rocblas_trtri_small_kernelILi16E19rocblas_complex_numIdEPKPKS1_PKPS1_Ev13rocblas_fill_17rocblas_diagonal_iT1_lillT2_lilli.num_vgpr, 20
	.set _ZL26rocblas_trtri_small_kernelILi16E19rocblas_complex_numIdEPKPKS1_PKPS1_Ev13rocblas_fill_17rocblas_diagonal_iT1_lillT2_lilli.num_agpr, 0
	.set _ZL26rocblas_trtri_small_kernelILi16E19rocblas_complex_numIdEPKPKS1_PKPS1_Ev13rocblas_fill_17rocblas_diagonal_iT1_lillT2_lilli.numbered_sgpr, 28
	.set _ZL26rocblas_trtri_small_kernelILi16E19rocblas_complex_numIdEPKPKS1_PKPS1_Ev13rocblas_fill_17rocblas_diagonal_iT1_lillT2_lilli.num_named_barrier, 0
	.set _ZL26rocblas_trtri_small_kernelILi16E19rocblas_complex_numIdEPKPKS1_PKPS1_Ev13rocblas_fill_17rocblas_diagonal_iT1_lillT2_lilli.private_seg_size, 0
	.set _ZL26rocblas_trtri_small_kernelILi16E19rocblas_complex_numIdEPKPKS1_PKPS1_Ev13rocblas_fill_17rocblas_diagonal_iT1_lillT2_lilli.uses_vcc, 1
	.set _ZL26rocblas_trtri_small_kernelILi16E19rocblas_complex_numIdEPKPKS1_PKPS1_Ev13rocblas_fill_17rocblas_diagonal_iT1_lillT2_lilli.uses_flat_scratch, 0
	.set _ZL26rocblas_trtri_small_kernelILi16E19rocblas_complex_numIdEPKPKS1_PKPS1_Ev13rocblas_fill_17rocblas_diagonal_iT1_lillT2_lilli.has_dyn_sized_stack, 0
	.set _ZL26rocblas_trtri_small_kernelILi16E19rocblas_complex_numIdEPKPKS1_PKPS1_Ev13rocblas_fill_17rocblas_diagonal_iT1_lillT2_lilli.has_recursion, 0
	.set _ZL26rocblas_trtri_small_kernelILi16E19rocblas_complex_numIdEPKPKS1_PKPS1_Ev13rocblas_fill_17rocblas_diagonal_iT1_lillT2_lilli.has_indirect_call, 0
	.section	.AMDGPU.csdata,"",@progbits
; Kernel info:
; codeLenInByte = 1924
; TotalNumSgprs: 30
; NumVgprs: 20
; ScratchSize: 0
; MemoryBound: 0
; FloatMode: 240
; IeeeMode: 1
; LDSByteSize: 4096 bytes/workgroup (compile time only)
; SGPRBlocks: 0
; VGPRBlocks: 14
; NumSGPRsForWavesPerEU: 30
; NumVGPRsForWavesPerEU: 113
; Occupancy: 8
; WaveLimiterHint : 0
; COMPUTE_PGM_RSRC2:SCRATCH_EN: 0
; COMPUTE_PGM_RSRC2:USER_SGPR: 6
; COMPUTE_PGM_RSRC2:TRAP_HANDLER: 0
; COMPUTE_PGM_RSRC2:TGID_X_EN: 1
; COMPUTE_PGM_RSRC2:TGID_Y_EN: 0
; COMPUTE_PGM_RSRC2:TGID_Z_EN: 1
; COMPUTE_PGM_RSRC2:TIDIG_COMP_CNT: 0
	.section	.text._ZL29rocblas_trtri_diagonal_kernelILi16E19rocblas_complex_numIdEPKPKS1_PKPS1_Ev13rocblas_fill_17rocblas_diagonal_iT1_lillT2_lilli,"axG",@progbits,_ZL29rocblas_trtri_diagonal_kernelILi16E19rocblas_complex_numIdEPKPKS1_PKPS1_Ev13rocblas_fill_17rocblas_diagonal_iT1_lillT2_lilli,comdat
	.globl	_ZL29rocblas_trtri_diagonal_kernelILi16E19rocblas_complex_numIdEPKPKS1_PKPS1_Ev13rocblas_fill_17rocblas_diagonal_iT1_lillT2_lilli ; -- Begin function _ZL29rocblas_trtri_diagonal_kernelILi16E19rocblas_complex_numIdEPKPKS1_PKPS1_Ev13rocblas_fill_17rocblas_diagonal_iT1_lillT2_lilli
	.p2align	8
	.type	_ZL29rocblas_trtri_diagonal_kernelILi16E19rocblas_complex_numIdEPKPKS1_PKPS1_Ev13rocblas_fill_17rocblas_diagonal_iT1_lillT2_lilli,@function
_ZL29rocblas_trtri_diagonal_kernelILi16E19rocblas_complex_numIdEPKPKS1_PKPS1_Ev13rocblas_fill_17rocblas_diagonal_iT1_lillT2_lilli: ; @_ZL29rocblas_trtri_diagonal_kernelILi16E19rocblas_complex_numIdEPKPKS1_PKPS1_Ev13rocblas_fill_17rocblas_diagonal_iT1_lillT2_lilli
; %bb.0:
	s_load_dwordx4 s[8:11], s[4:5], 0x0
	s_mov_b32 s0, s7
	s_waitcnt lgkmcnt(0)
	s_ashr_i32 s1, s10, 31
	s_lshr_b32 s1, s1, 27
	s_add_i32 s1, s10, s1
	s_ashr_i32 s1, s1, 5
	v_cvt_f32_u32_e32 v1, s1
	s_sub_i32 s3, 0, s1
	v_rcp_iflag_f32_e32 v1, v1
	v_mul_f32_e32 v1, 0x4f7ffffe, v1
	v_cvt_u32_f32_e32 v1, v1
	v_readfirstlane_b32 s2, v1
	s_mul_i32 s3, s3, s2
	s_mul_hi_u32 s3, s2, s3
	s_add_i32 s2, s2, s3
	s_mul_hi_u32 s2, s6, s2
	s_mul_i32 s3, s2, s1
	s_add_i32 s7, s2, 1
	s_sub_i32 s3, s6, s3
	s_sub_i32 s11, s3, s1
	s_cmp_ge_u32 s3, s1
	s_cselect_b32 s2, s7, s2
	s_cselect_b32 s3, s11, s3
	s_add_i32 s7, s2, 1
	s_cmp_ge_u32 s3, s1
	s_cselect_b32 s24, s7, s2
	s_mul_i32 s1, s24, s1
	s_sub_i32 s25, s6, s1
	s_mov_b32 s1, 0
	s_lshl_b32 s2, s25, 4
	s_cmp_eq_u32 s10, s2
	s_cbranch_scc1 .LBB30_98
; %bb.1:
	s_clause 0x1
	s_load_dwordx4 s[12:15], s[4:5], 0x10
	s_load_dwordx4 s[16:19], s[4:5], 0x30
	s_lshl_b64 s[0:1], s[0:1], 3
	s_load_dwordx2 s[20:21], s[4:5], 0x40
	v_mov_b32_e32 v9, v0
	s_waitcnt lgkmcnt(0)
	s_add_u32 s6, s12, s0
	s_addc_u32 s7, s13, s1
	s_add_u32 s0, s18, s0
	s_addc_u32 s1, s19, s1
	s_load_dwordx2 s[12:13], s[6:7], 0x0
	s_load_dwordx2 s[6:7], s[0:1], 0x0
	s_sub_i32 s23, s10, s2
	s_min_u32 s22, s23, 16
	s_lshl_b32 s10, s22, 1
	v_cmp_gt_u32_e64 s2, s22, v0
	v_cmp_le_u32_e64 s0, s22, v0
	v_cmp_gt_u32_e64 s1, s10, v0
	v_cmp_le_u32_e32 vcc_lo, s10, v0
	s_and_saveexec_b32 s3, s0
	s_cbranch_execz .LBB30_7
; %bb.2:
                                        ; implicit-def: $vgpr9
	s_and_saveexec_b32 s11, vcc_lo
	s_xor_b32 s11, exec_lo, s11
; %bb.3:
	v_subrev_nc_u32_e32 v9, s10, v0
; %bb.4:
	s_andn2_saveexec_b32 s10, s11
; %bb.5:
	v_subrev_nc_u32_e32 v9, s22, v0
; %bb.6:
	s_or_b32 exec_lo, exec_lo, s10
.LBB30_7:
	s_or_b32 exec_lo, exec_lo, s3
	s_load_dword s10, s[4:5], 0x20
	v_cndmask_b32_e64 v1, 0, 0x3000, s1
	s_mul_i32 s3, s17, s24
	s_mul_hi_u32 s17, s16, s24
	v_cndmask_b32_e64 v11, v1, 0x2000, s2
	s_waitcnt lgkmcnt(0)
	s_ashr_i32 s11, s10, 31
	s_lshl_b64 s[18:19], s[10:11], 5
	s_add_u32 s2, s18, 32
	s_addc_u32 s18, s19, 0
	s_add_i32 s3, s17, s3
	s_mul_hi_u32 s17, s2, s25
	s_mul_i32 s19, s18, s25
	s_mul_i32 s18, s2, s25
	s_add_i32 s19, s17, s19
	s_mul_i32 s2, s16, s24
	s_and_saveexec_b32 s16, vcc_lo
	s_xor_b32 s26, exec_lo, s16
	s_cbranch_execz .LBB30_17
; %bb.8:
	s_mul_i32 s16, s22, 3
	s_mov_b32 s27, exec_lo
	v_cmpx_gt_u32_e64 s16, v0
	s_cbranch_execz .LBB30_16
; %bb.9:
	s_cmpk_eq_i32 s8, 0x7a
	s_mov_b32 s16, -1
	s_cbranch_scc1 .LBB30_13
; %bb.10:
	s_add_i32 s28, s22, -1
	s_lshl_b32 s36, s22, 4
	s_mul_i32 s17, s22, s28
	s_lshl_b64 s[30:31], s[2:3], 4
	s_lshl_b64 s[34:35], s[18:19], 4
	s_add_i32 s16, s22, 1
	s_lshl_b32 s33, s17, 4
	s_mov_b32 s29, 0
	s_sub_i32 s17, 0, s36
	v_lshlrev_b32_e32 v1, 4, v9
	s_add_u32 s30, s30, s34
	s_addc_u32 s31, s31, s35
	s_lshl_b64 s[28:29], s[28:29], 4
	v_ashrrev_i32_e32 v10, 31, v9
	s_add_u32 s28, s36, s28
	v_add3_u32 v3, s33, v1, v11
	s_mul_i32 s33, s28, s11
	s_mul_hi_u32 s34, s28, s10
	s_addc_u32 s29, 0, s29
	s_add_i32 s33, s34, s33
	s_mul_i32 s29, s29, s10
	s_mul_i32 s28, s28, s10
	s_add_i32 s33, s33, s29
	s_add_u32 s30, s30, s28
	s_addc_u32 s31, s31, s33
	s_lshl_b64 s[28:29], s[14:15], 4
	v_lshlrev_b64 v[1:2], 4, v[9:10]
	s_add_u32 s28, s30, s28
	s_addc_u32 s29, s31, s29
	s_add_u32 s28, s12, s28
	s_addc_u32 s29, s13, s29
	v_add_co_u32 v1, vcc_lo, s28, v1
	v_add_co_ci_u32_e64 v2, null, s29, v2, vcc_lo
	s_lshl_b64 s[28:29], s[10:11], 4
	s_sub_u32 s28, 0, s28
	s_subb_u32 s29, 0, s29
.LBB30_11:                              ; =>This Inner Loop Header: Depth=1
	flat_load_dwordx4 v[4:7], v[1:2]
	v_add_co_u32 v1, vcc_lo, v1, s28
	v_add_co_ci_u32_e64 v2, null, s29, v2, vcc_lo
	s_add_i32 s16, s16, -1
	s_cmp_gt_u32 s16, 1
	s_waitcnt vmcnt(0) lgkmcnt(0)
	ds_write2_b64 v3, v[4:5], v[6:7] offset1:1
	v_add_nc_u32_e32 v3, s17, v3
	s_cbranch_scc1 .LBB30_11
; %bb.12:
	s_mov_b32 s16, 0
.LBB30_13:
	s_and_b32 vcc_lo, exec_lo, s16
	s_cbranch_vccz .LBB30_16
; %bb.14:
	v_add_nc_u32_e32 v1, s22, v9
	s_lshl_b64 s[16:17], s[14:15], 4
	v_lshl_add_u32 v3, v9, 4, v11
	s_add_u32 s28, s12, s16
	s_addc_u32 s29, s13, s17
	v_ashrrev_i32_e32 v2, 31, v1
	s_lshl_b64 s[16:17], s[18:19], 4
	s_add_u32 s28, s28, s16
	s_addc_u32 s29, s29, s17
	v_lshlrev_b64 v[1:2], 4, v[1:2]
	s_lshl_b64 s[16:17], s[2:3], 4
	s_add_u32 s16, s28, s16
	s_addc_u32 s17, s29, s17
	s_lshl_b32 s28, s22, 4
	v_add_co_u32 v1, vcc_lo, s16, v1
	v_add_co_ci_u32_e64 v2, null, s17, v2, vcc_lo
	s_lshl_b64 s[16:17], s[10:11], 4
	s_mov_b32 s29, s22
.LBB30_15:                              ; =>This Inner Loop Header: Depth=1
	flat_load_dwordx4 v[4:7], v[1:2]
	v_add_co_u32 v1, vcc_lo, v1, s16
	v_add_co_ci_u32_e64 v2, null, s17, v2, vcc_lo
	s_add_i32 s29, s29, -1
	s_cmp_eq_u32 s29, 0
	s_waitcnt vmcnt(0) lgkmcnt(0)
	ds_write2_b64 v3, v[4:5], v[6:7] offset1:1
	v_add_nc_u32_e32 v3, s28, v3
	s_cbranch_scc0 .LBB30_15
.LBB30_16:
	s_or_b32 exec_lo, exec_lo, s27
.LBB30_17:
	s_andn2_saveexec_b32 s16, s26
	s_cbranch_execz .LBB30_31
; %bb.18:
	v_mov_b32_e32 v1, 0
	v_mov_b32_e32 v2, 0
	s_and_saveexec_b32 s17, s0
; %bb.19:
	s_add_u32 s26, s10, 1
	s_addc_u32 s27, s11, 0
	s_mul_hi_u32 s28, s26, s22
	s_mul_i32 s27, s27, s22
	s_mul_i32 s26, s26, s22
	s_add_i32 s27, s28, s27
	v_mov_b32_e32 v1, s26
	v_mov_b32_e32 v2, s27
; %bb.20:
	s_or_b32 exec_lo, exec_lo, s17
	v_lshlrev_b64 v[5:6], 4, v[1:2]
	s_cmpk_lg_i32 s8, 0x7a
	s_mov_b32 s17, -1
	s_cbranch_scc0 .LBB30_26
; %bb.21:
	s_lshl_b64 s[26:27], s[2:3], 4
	s_lshl_b64 s[28:29], s[18:19], 4
	s_add_i32 s17, s22, -1
	s_add_u32 s28, s26, s28
	s_mul_i32 s26, s11, s17
	s_mul_hi_u32 s30, s10, s17
	s_addc_u32 s29, s27, s29
	s_add_i32 s27, s30, s26
	s_mul_i32 s26, s10, s17
	v_ashrrev_i32_e32 v10, 31, v9
	s_lshl_b64 s[26:27], s[26:27], 4
	v_sub_nc_u32_e32 v3, s17, v9
	s_add_u32 s28, s28, s26
	s_addc_u32 s29, s29, s27
	s_lshl_b64 s[26:27], s[14:15], 4
	v_lshlrev_b64 v[1:2], 4, v[9:10]
	s_add_u32 s17, s26, s28
	s_addc_u32 s26, s27, s29
	v_add_co_u32 v4, vcc_lo, s17, v5
	v_add_co_ci_u32_e64 v7, null, s26, v6, vcc_lo
	v_lshl_add_u32 v10, v3, 4, v11
	v_add_co_u32 v1, vcc_lo, v4, v1
	v_add_co_ci_u32_e64 v2, null, v7, v2, vcc_lo
	s_lshl_b64 s[26:27], s[10:11], 4
	v_add_co_u32 v7, vcc_lo, s12, v1
	v_add_co_ci_u32_e64 v8, null, s13, v2, vcc_lo
	s_sub_u32 s17, 0, s26
	s_subb_u32 s26, 0, s27
	s_lshl_b32 s27, s22, 4
	s_mov_b32 s28, s22
	s_branch .LBB30_23
	.p2align	6
.LBB30_22:                              ;   in Loop: Header=BB30_23 Depth=1
	s_or_b32 exec_lo, exec_lo, s29
	v_add_co_u32 v7, vcc_lo, v7, s17
	s_waitcnt vmcnt(0) lgkmcnt(0)
	ds_write_b128 v10, v[1:4]
	v_add_co_ci_u32_e64 v8, null, s26, v8, vcc_lo
	v_add_nc_u32_e32 v10, s27, v10
	s_cmp_lt_i32 s28, 1
	s_cbranch_scc1 .LBB30_25
.LBB30_23:                              ; =>This Inner Loop Header: Depth=1
	v_mov_b32_e32 v1, 0
	v_mov_b32_e32 v3, 0
	;; [unrolled: 1-line block ×4, first 2 shown]
	s_add_i32 s28, s28, -1
	s_mov_b32 s29, exec_lo
	v_cmpx_ge_i32_e64 s28, v9
	s_cbranch_execz .LBB30_22
; %bb.24:                               ;   in Loop: Header=BB30_23 Depth=1
	flat_load_dwordx4 v[1:4], v[7:8]
	s_branch .LBB30_22
.LBB30_25:
	s_mov_b32 s17, 0
.LBB30_26:
	s_and_b32 vcc_lo, exec_lo, s17
	s_cbranch_vccz .LBB30_31
; %bb.27:
	s_lshl_b64 s[2:3], s[2:3], 4
	s_lshl_b64 s[18:19], s[18:19], 4
	v_ashrrev_i32_e32 v10, 31, v9
	s_add_u32 s17, s2, s18
	s_addc_u32 s18, s3, s19
	s_lshl_b64 s[2:3], s[14:15], 4
	v_lshl_add_u32 v7, v9, 4, v11
	s_add_u32 s2, s2, s17
	v_lshlrev_b64 v[1:2], 4, v[9:10]
	s_addc_u32 s3, s3, s18
	v_add_co_u32 v3, vcc_lo, s2, v5
	v_add_co_ci_u32_e64 v4, null, s3, v6, vcc_lo
	s_lshl_b64 s[2:3], s[10:11], 4
	v_add_co_u32 v1, vcc_lo, v3, v1
	v_add_co_ci_u32_e64 v2, null, v4, v2, vcc_lo
	s_lshl_b32 s10, s22, 4
	v_add_co_u32 v5, vcc_lo, s12, v1
	v_add_co_ci_u32_e64 v6, null, s13, v2, vcc_lo
	s_mov_b32 s11, 0
	s_branch .LBB30_29
	.p2align	6
.LBB30_28:                              ;   in Loop: Header=BB30_29 Depth=1
	s_or_b32 exec_lo, exec_lo, s12
	v_add_co_u32 v5, vcc_lo, v5, s2
	s_waitcnt vmcnt(0) lgkmcnt(0)
	ds_write_b128 v7, v[1:4]
	v_add_co_ci_u32_e64 v6, null, s3, v6, vcc_lo
	v_add_nc_u32_e32 v7, s10, v7
	s_add_i32 s11, s11, 1
	s_cmp_eq_u32 s22, s11
	s_cbranch_scc1 .LBB30_31
.LBB30_29:                              ; =>This Inner Loop Header: Depth=1
	v_mov_b32_e32 v1, 0
	v_mov_b32_e32 v3, 0
	;; [unrolled: 1-line block ×4, first 2 shown]
	s_mov_b32 s12, exec_lo
	v_cmpx_le_i32_e64 s11, v9
	s_cbranch_execz .LBB30_28
; %bb.30:                               ;   in Loop: Header=BB30_29 Depth=1
	flat_load_dwordx4 v[1:4], v[5:6]
	s_branch .LBB30_28
.LBB30_31:
	s_or_b32 exec_lo, exec_lo, s16
	s_waitcnt lgkmcnt(0)
	s_barrier
	buffer_gl0_inv
	s_and_saveexec_b32 s3, s1
	s_cbranch_execz .LBB30_42
; %bb.32:
	s_add_i32 s2, s22, 1
	s_cmpk_eq_i32 s9, 0x84
	v_mul_i32_i24_e32 v1, s2, v9
	v_lshl_add_u32 v10, v1, 4, v11
	s_cbranch_scc1 .LBB30_40
; %bb.33:
	ds_read_b128 v[1:4], v10
	v_mov_b32_e32 v7, 0
	v_mov_b32_e32 v5, 0
	;; [unrolled: 1-line block ×4, first 2 shown]
	s_waitcnt lgkmcnt(0)
	v_cmp_neq_f64_e32 vcc_lo, 0, v[1:2]
	v_cmp_neq_f64_e64 s2, 0, v[3:4]
	s_or_b32 s9, vcc_lo, s2
	s_and_saveexec_b32 s2, s9
	s_cbranch_execz .LBB30_39
; %bb.34:
	v_cmp_ngt_f64_e64 s9, |v[1:2]|, |v[3:4]|
                                        ; implicit-def: $vgpr7_vgpr8
	s_and_saveexec_b32 s10, s9
	s_xor_b32 s9, exec_lo, s10
	s_cbranch_execz .LBB30_36
; %bb.35:
	v_div_scale_f64 v[5:6], null, v[3:4], v[3:4], v[1:2]
	v_div_scale_f64 v[14:15], vcc_lo, v[1:2], v[3:4], v[1:2]
	v_rcp_f64_e32 v[7:8], v[5:6]
	v_fma_f64 v[12:13], -v[5:6], v[7:8], 1.0
	v_fma_f64 v[7:8], v[7:8], v[12:13], v[7:8]
	v_fma_f64 v[12:13], -v[5:6], v[7:8], 1.0
	v_fma_f64 v[7:8], v[7:8], v[12:13], v[7:8]
	v_mul_f64 v[12:13], v[14:15], v[7:8]
	v_fma_f64 v[5:6], -v[5:6], v[12:13], v[14:15]
	v_div_fmas_f64 v[5:6], v[5:6], v[7:8], v[12:13]
	v_div_fixup_f64 v[5:6], v[5:6], v[3:4], v[1:2]
	v_fma_f64 v[1:2], v[1:2], v[5:6], v[3:4]
	v_div_scale_f64 v[3:4], null, v[1:2], v[1:2], 1.0
	v_rcp_f64_e32 v[7:8], v[3:4]
	v_fma_f64 v[12:13], -v[3:4], v[7:8], 1.0
	v_fma_f64 v[7:8], v[7:8], v[12:13], v[7:8]
	v_fma_f64 v[12:13], -v[3:4], v[7:8], 1.0
	v_fma_f64 v[7:8], v[7:8], v[12:13], v[7:8]
	v_div_scale_f64 v[12:13], vcc_lo, 1.0, v[1:2], 1.0
	v_mul_f64 v[14:15], v[12:13], v[7:8]
	v_fma_f64 v[3:4], -v[3:4], v[14:15], v[12:13]
	v_div_fmas_f64 v[3:4], v[3:4], v[7:8], v[14:15]
	v_div_fixup_f64 v[7:8], v[3:4], v[1:2], 1.0
                                        ; implicit-def: $vgpr1_vgpr2
	v_mul_f64 v[5:6], v[5:6], v[7:8]
	v_xor_b32_e32 v8, 0x80000000, v8
.LBB30_36:
	s_andn2_saveexec_b32 s9, s9
	s_cbranch_execz .LBB30_38
; %bb.37:
	v_div_scale_f64 v[5:6], null, v[1:2], v[1:2], v[3:4]
	v_div_scale_f64 v[14:15], vcc_lo, v[3:4], v[1:2], v[3:4]
	v_rcp_f64_e32 v[7:8], v[5:6]
	v_fma_f64 v[12:13], -v[5:6], v[7:8], 1.0
	v_fma_f64 v[7:8], v[7:8], v[12:13], v[7:8]
	v_fma_f64 v[12:13], -v[5:6], v[7:8], 1.0
	v_fma_f64 v[7:8], v[7:8], v[12:13], v[7:8]
	v_mul_f64 v[12:13], v[14:15], v[7:8]
	v_fma_f64 v[5:6], -v[5:6], v[12:13], v[14:15]
	v_div_fmas_f64 v[5:6], v[5:6], v[7:8], v[12:13]
	v_div_fixup_f64 v[7:8], v[5:6], v[1:2], v[3:4]
	v_fma_f64 v[1:2], v[3:4], v[7:8], v[1:2]
	v_div_scale_f64 v[3:4], null, v[1:2], v[1:2], 1.0
	v_rcp_f64_e32 v[5:6], v[3:4]
	v_fma_f64 v[12:13], -v[3:4], v[5:6], 1.0
	v_fma_f64 v[5:6], v[5:6], v[12:13], v[5:6]
	v_fma_f64 v[12:13], -v[3:4], v[5:6], 1.0
	v_fma_f64 v[5:6], v[5:6], v[12:13], v[5:6]
	v_div_scale_f64 v[12:13], vcc_lo, 1.0, v[1:2], 1.0
	v_mul_f64 v[14:15], v[12:13], v[5:6]
	v_fma_f64 v[3:4], -v[3:4], v[14:15], v[12:13]
	v_div_fmas_f64 v[3:4], v[3:4], v[5:6], v[14:15]
	v_div_fixup_f64 v[5:6], v[3:4], v[1:2], 1.0
	v_mul_f64 v[7:8], v[7:8], -v[5:6]
.LBB30_38:
	s_or_b32 exec_lo, exec_lo, s9
.LBB30_39:
	s_or_b32 exec_lo, exec_lo, s2
	s_branch .LBB30_41
.LBB30_40:
	v_mov_b32_e32 v7, 0
	v_mov_b32_e32 v5, 0
	;; [unrolled: 1-line block ×4, first 2 shown]
.LBB30_41:
	ds_write_b128 v10, v[5:8]
.LBB30_42:
	s_or_b32 exec_lo, exec_lo, s3
	s_waitcnt lgkmcnt(0)
	s_barrier
	buffer_gl0_inv
	s_and_saveexec_b32 s2, s1
	s_cbranch_execz .LBB30_54
; %bb.43:
	s_add_i32 s3, s22, 1
	v_lshlrev_b32_e32 v1, 4, v9
	v_mul_i32_i24_e32 v2, s3, v9
	s_lshl_b32 s3, s22, 4
	v_add_nc_u32_e32 v8, 16, v11
	s_add_i32 s9, s3, 16
	v_add_nc_u32_e32 v5, v11, v1
	v_add3_u32 v6, v1, s3, v11
	v_lshl_add_u32 v7, v2, 4, v11
	s_mov_b32 s10, 0
	s_branch .LBB30_45
.LBB30_44:                              ;   in Loop: Header=BB30_45 Depth=1
	s_inst_prefetch 0x2
	v_add_nc_u32_e32 v6, s3, v6
	v_add_nc_u32_e32 v8, s9, v8
	s_cmp_eq_u32 s10, s22
	s_cbranch_scc1 .LBB30_54
.LBB30_45:                              ; =>This Loop Header: Depth=1
                                        ;     Child Loop BB30_50 Depth 2
	v_mov_b32_e32 v1, 0
	v_mov_b32_e32 v3, 0
	;; [unrolled: 1-line block ×4, first 2 shown]
	s_mul_i32 s11, s10, s22
	s_mov_b32 s12, exec_lo
	v_cmpx_lt_i32_e64 s10, v9
	s_cbranch_execz .LBB30_47
; %bb.46:                               ;   in Loop: Header=BB30_45 Depth=1
	s_lshl_b32 s13, s11, 4
	s_lshl_b32 s14, s10, 4
	v_add_nc_u32_e32 v10, s13, v5
	v_add3_u32 v1, s13, s14, v11
	ds_read_b128 v[1:4], v1
	ds_read_b128 v[12:15], v10
	s_waitcnt lgkmcnt(0)
	v_mul_f64 v[16:17], v[3:4], v[14:15]
	v_mul_f64 v[14:15], v[1:2], v[14:15]
	v_fma_f64 v[1:2], v[1:2], v[12:13], -v[16:17]
	v_fma_f64 v[3:4], v[3:4], v[12:13], v[14:15]
	v_add_f64 v[1:2], v[1:2], 0
	v_add_f64 v[3:4], v[3:4], 0
.LBB30_47:                              ;   in Loop: Header=BB30_45 Depth=1
	s_or_b32 exec_lo, exec_lo, s12
	s_add_i32 s10, s10, 1
	s_cmp_ge_u32 s10, s22
	s_cbranch_scc1 .LBB30_44
; %bb.48:                               ;   in Loop: Header=BB30_45 Depth=1
	v_lshl_add_u32 v10, s11, 4, v5
	v_mov_b32_e32 v12, v8
	v_mov_b32_e32 v13, v6
	s_mov_b32 s11, s10
	s_inst_prefetch 0x1
	s_branch .LBB30_50
	.p2align	6
.LBB30_49:                              ;   in Loop: Header=BB30_50 Depth=2
	s_or_b32 exec_lo, exec_lo, s12
	v_add_nc_u32_e32 v13, s3, v13
	v_add_nc_u32_e32 v12, 16, v12
	s_add_i32 s11, s11, 1
	s_cmp_eq_u32 s22, s11
	s_cbranch_scc1 .LBB30_44
.LBB30_50:                              ;   Parent Loop BB30_45 Depth=1
                                        ; =>  This Inner Loop Header: Depth=2
	s_mov_b32 s12, exec_lo
	v_cmpx_eq_u32_e64 s11, v9
	s_cbranch_execz .LBB30_52
; %bb.51:                               ;   in Loop: Header=BB30_50 Depth=2
	ds_read_b128 v[14:17], v7
	v_add_f64 v[18:19], -v[1:2], 0
	s_waitcnt lgkmcnt(0)
	v_mul_f64 v[20:21], v[3:4], v[16:17]
	v_mul_f64 v[22:23], v[3:4], v[14:15]
	v_fma_f64 v[14:15], v[18:19], v[14:15], v[20:21]
	v_fma_f64 v[16:17], v[18:19], v[16:17], -v[22:23]
	ds_write_b128 v10, v[14:17]
.LBB30_52:                              ;   in Loop: Header=BB30_50 Depth=2
	s_or_b32 exec_lo, exec_lo, s12
	s_mov_b32 s12, exec_lo
	v_cmpx_lt_i32_e64 s11, v9
	s_cbranch_execz .LBB30_49
; %bb.53:                               ;   in Loop: Header=BB30_50 Depth=2
	ds_read_b128 v[14:17], v12
	ds_read_b128 v[18:21], v13
	s_waitcnt lgkmcnt(0)
	v_mul_f64 v[22:23], v[16:17], v[20:21]
	v_mul_f64 v[20:21], v[14:15], v[20:21]
	v_fma_f64 v[14:15], v[14:15], v[18:19], -v[22:23]
	v_fma_f64 v[16:17], v[16:17], v[18:19], v[20:21]
	v_add_f64 v[1:2], v[1:2], v[14:15]
	v_add_f64 v[3:4], v[3:4], v[16:17]
	s_branch .LBB30_49
.LBB30_54:
	s_or_b32 exec_lo, exec_lo, s2
	s_and_b32 s2, s22, 0xffff
	v_cvt_f32_ubyte0_e32 v3, v0
	v_cvt_f32_u32_e32 v1, s2
	s_mul_i32 s2, s22, s22
	s_cmpk_lg_i32 s8, 0x7a
	v_cmp_gt_u32_e64 s2, s2, v0
	s_cselect_b32 s3, -1, 0
	v_rcp_iflag_f32_e32 v2, v1
	s_mov_b32 s9, 0
	s_waitcnt lgkmcnt(0)
	s_barrier
	buffer_gl0_inv
	v_mul_f32_e32 v2, v3, v2
	v_trunc_f32_e32 v2, v2
	v_fma_f32 v3, -v2, v1, v3
	v_cvt_u32_f32_e32 v2, v2
	v_cmp_ge_f32_e64 vcc_lo, |v3|, v1
	v_add_co_ci_u32_e64 v1, null, 0, v2, vcc_lo
	s_and_b32 vcc_lo, exec_lo, s3
	v_mul_lo_u16 v2, v1, s22
	v_and_b32_e32 v7, 0xffff, v1
	v_sub_nc_u16 v2, v0, v2
	v_and_b32_e32 v6, 0xffff, v2
	s_cbranch_vccz .LBB30_60
; %bb.55:
	s_mov_b32 s8, 0
                                        ; implicit-def: $vgpr0_vgpr1
                                        ; implicit-def: $vgpr4
	s_and_saveexec_b32 s10, s2
	s_cbranch_execz .LBB30_59
; %bb.56:
	v_lshlrev_b32_e32 v4, 8, v7
	v_mov_b32_e32 v0, 0
	v_mov_b32_e32 v2, 0
	v_lshlrev_b32_e32 v5, 4, v6
	v_mov_b32_e32 v1, 0
	v_mov_b32_e32 v3, 0
	v_sub_nc_u32_e32 v8, 0x3ff0, v4
	s_mov_b32 s11, -1
	.p2align	6
.LBB30_57:                              ; =>This Inner Loop Header: Depth=1
	ds_read_b128 v[12:15], v8
	ds_read_b128 v[16:19], v5
	s_add_i32 s11, s11, 1
	v_add_nc_u32_e32 v8, -16, v8
	v_cmp_ge_u32_e32 vcc_lo, s11, v7
	v_add_nc_u32_e32 v5, 0x100, v5
	s_or_b32 s9, vcc_lo, s9
	s_waitcnt lgkmcnt(0)
	v_mul_f64 v[20:21], v[14:15], v[18:19]
	v_mul_f64 v[18:19], v[12:13], v[18:19]
	v_fma_f64 v[12:13], v[12:13], v[16:17], -v[20:21]
	v_fma_f64 v[14:15], v[14:15], v[16:17], v[18:19]
	v_add_f64 v[2:3], v[2:3], v[12:13]
	v_add_f64 v[0:1], v[0:1], v[14:15]
	s_andn2_b32 exec_lo, exec_lo, s9
	s_cbranch_execnz .LBB30_57
; %bb.58:
	s_or_b32 exec_lo, exec_lo, s9
	v_lshl_add_u32 v5, v6, 4, v4
	s_mov_b32 s9, exec_lo
	v_add_nc_u32_e32 v4, 0x1000, v5
	ds_write_b64 v5, v[2:3] offset:4096
.LBB30_59:
	s_or_b32 exec_lo, exec_lo, s10
	s_and_b32 vcc_lo, exec_lo, s8
	s_cbranch_vccnz .LBB30_61
	s_branch .LBB30_70
.LBB30_60:
                                        ; implicit-def: $vgpr0_vgpr1
                                        ; implicit-def: $vgpr4
	s_cbranch_execz .LBB30_70
.LBB30_61:
                                        ; implicit-def: $vgpr0_vgpr1
                                        ; implicit-def: $vgpr4
	s_and_saveexec_b32 s8, s2
	s_cbranch_execz .LBB30_69
; %bb.62:
	v_lshlrev_b32_e32 v4, 8, v7
	s_mov_b32 s10, exec_lo
	v_cmpx_lt_u16_e32 15, v7
	s_xor_b32 s10, exec_lo, s10
; %bb.63:
	v_lshlrev_b32_e32 v4, 8, v7
; %bb.64:
	s_or_saveexec_b32 s10, s10
	v_mov_b32_e32 v0, 0
	v_mov_b32_e32 v2, 0
	;; [unrolled: 1-line block ×4, first 2 shown]
	s_xor_b32 exec_lo, exec_lo, s10
	s_cbranch_execz .LBB30_68
; %bb.65:
	s_movk_i32 s11, 0x110
	v_mov_b32_e32 v0, 0
	v_mov_b32_e32 v2, 0
	v_add_nc_u32_e32 v5, -1, v7
	v_mad_u32_u24 v8, v7, s11, 0x2000
	v_mov_b32_e32 v1, 0
	v_mov_b32_e32 v3, 0
	v_lshl_add_u32 v10, v6, 4, v4
	s_mov_b32 s11, 0
	.p2align	6
.LBB30_66:                              ; =>This Inner Loop Header: Depth=1
	ds_read_b128 v[12:15], v8
	ds_read_b128 v[16:19], v10
	v_add_nc_u32_e32 v5, 1, v5
	v_add_nc_u32_e32 v8, 16, v8
	;; [unrolled: 1-line block ×3, first 2 shown]
	v_cmp_lt_u32_e32 vcc_lo, 14, v5
	s_or_b32 s11, vcc_lo, s11
	s_waitcnt lgkmcnt(0)
	v_mul_f64 v[20:21], v[14:15], v[18:19]
	v_mul_f64 v[18:19], v[12:13], v[18:19]
	v_fma_f64 v[12:13], v[12:13], v[16:17], -v[20:21]
	v_fma_f64 v[14:15], v[14:15], v[16:17], v[18:19]
	v_add_f64 v[2:3], v[2:3], v[12:13]
	v_add_f64 v[0:1], v[0:1], v[14:15]
	s_andn2_b32 exec_lo, exec_lo, s11
	s_cbranch_execnz .LBB30_66
; %bb.67:
	s_or_b32 exec_lo, exec_lo, s11
.LBB30_68:
	s_or_b32 exec_lo, exec_lo, s10
	v_lshl_add_u32 v5, v6, 4, v4
	s_or_b32 s9, s9, exec_lo
	v_add_nc_u32_e32 v4, 0x1000, v5
	ds_write_b64 v5, v[2:3] offset:4096
.LBB30_69:
	s_or_b32 exec_lo, exec_lo, s8
.LBB30_70:
	s_and_saveexec_b32 s8, s9
; %bb.71:
	ds_write_b64 v4, v[0:1] offset:8
; %bb.72:
	s_or_b32 exec_lo, exec_lo, s8
	s_clause 0x1
	s_load_dword s8, s[4:5], 0x48
	s_load_dwordx2 s[12:13], s[4:5], 0x58
	s_lshl_b64 s[4:5], s[20:21], 4
	s_waitcnt lgkmcnt(0)
	s_barrier
	buffer_gl0_inv
	s_ashr_i32 s9, s8, 31
	s_add_u32 s14, s6, s4
	s_addc_u32 s15, s7, s5
	s_lshl_b64 s[10:11], s[8:9], 5
	s_mul_i32 s13, s13, s24
	s_add_u32 s10, s10, 32
	s_addc_u32 s11, s11, 0
	s_mul_hi_u32 s16, s10, s25
	s_mul_i32 s11, s11, s25
	s_mul_i32 s10, s10, s25
	s_add_i32 s11, s16, s11
	s_mul_hi_u32 s16, s12, s24
	s_lshl_b64 s[10:11], s[10:11], 4
	s_mul_i32 s12, s12, s24
	s_add_u32 s14, s14, s10
	s_addc_u32 s15, s15, s11
	s_add_i32 s13, s16, s13
	s_lshl_b64 s[12:13], s[12:13], 4
	s_add_u32 s14, s14, s12
	s_addc_u32 s15, s15, s13
	s_and_b32 vcc_lo, exec_lo, s3
	s_cbranch_vccz .LBB30_78
; %bb.73:
	s_mov_b32 s17, 0
	s_mov_b32 s16, 0
                                        ; implicit-def: $vgpr0_vgpr1
                                        ; implicit-def: $vgpr2_vgpr3
	s_and_saveexec_b32 s18, s2
	s_cbranch_execz .LBB30_77
; %bb.74:
	v_lshlrev_b32_e32 v2, 4, v6
	s_lshl_b32 s19, s22, 4
	v_mul_u32_u24_e32 v1, s22, v7
	v_mov_b32_e32 v4, 0
	v_add_nc_u32_e32 v3, -1, v6
	v_sub_nc_u32_e32 v0, s19, v2
	v_mov_b32_e32 v5, 0
	v_lshlrev_b32_e32 v1, 4, v1
	s_sub_i32 s19, 0, s19
	v_mul_i32_i24_e32 v0, s22, v0
	v_add3_u32 v8, v1, v2, 0x1000
	v_sub_nc_u32_e32 v10, v0, v2
	v_mov_b32_e32 v0, 0
	v_mov_b32_e32 v1, 0
	v_add_nc_u32_e32 v10, 0x1ff0, v10
	.p2align	6
.LBB30_75:                              ; =>This Inner Loop Header: Depth=1
	ds_read_b128 v[12:15], v10
	ds_read_b128 v[16:19], v8
	v_add_nc_u32_e32 v3, 1, v3
	v_add_nc_u32_e32 v8, 16, v8
	;; [unrolled: 1-line block ×3, first 2 shown]
	v_cmp_lt_u32_e32 vcc_lo, 14, v3
	s_or_b32 s16, vcc_lo, s16
	s_waitcnt lgkmcnt(0)
	v_mul_f64 v[20:21], v[12:13], v[16:17]
	v_mul_f64 v[12:13], v[12:13], v[18:19]
	v_fma_f64 v[18:19], v[14:15], v[18:19], -v[20:21]
	v_fma_f64 v[12:13], v[16:17], -v[14:15], -v[12:13]
	v_add_f64 v[4:5], v[4:5], v[18:19]
	v_add_f64 v[0:1], v[0:1], v[12:13]
	s_andn2_b32 exec_lo, exec_lo, s16
	s_cbranch_execnz .LBB30_75
; %bb.76:
	s_or_b32 exec_lo, exec_lo, s16
	v_mad_i64_i32 v[12:13], null, v7, s8, 0
	s_mul_hi_i32 s21, s22, s8
	s_mul_i32 s20, s22, s8
	s_mov_b32 s16, exec_lo
	s_lshl_b64 s[20:21], s[20:21], 4
	s_add_u32 s19, s14, s20
	v_lshlrev_b64 v[12:13], 4, v[12:13]
	s_addc_u32 s20, s15, s21
	v_add_co_u32 v2, s19, s19, v2
	v_add_co_ci_u32_e64 v3, null, s20, 0, s19
	v_add_co_u32 v2, vcc_lo, v2, v12
	v_add_co_ci_u32_e64 v3, null, v3, v13, vcc_lo
	flat_store_dwordx2 v[2:3], v[4:5]
.LBB30_77:
	s_or_b32 exec_lo, exec_lo, s18
	s_and_b32 vcc_lo, exec_lo, s17
	s_cbranch_vccnz .LBB30_79
	s_branch .LBB30_84
.LBB30_78:
	s_mov_b32 s16, 0
                                        ; implicit-def: $vgpr0_vgpr1
                                        ; implicit-def: $vgpr2_vgpr3
	s_cbranch_execz .LBB30_84
.LBB30_79:
                                        ; implicit-def: $vgpr0_vgpr1
                                        ; implicit-def: $vgpr2_vgpr3
	s_and_saveexec_b32 s17, s2
	s_cbranch_execz .LBB30_83
; %bb.80:
	v_mul_u32_u24_e32 v3, s22, v7
	v_mov_b32_e32 v4, 0
	v_mov_b32_e32 v0, 0
	v_lshl_add_u32 v2, v6, 4, 0x3000
	v_mov_b32_e32 v5, 0
	v_mov_b32_e32 v1, 0
	v_lshl_add_u32 v3, v3, 4, 0x1000
	s_lshl_b32 s2, s22, 4
	s_mov_b32 s19, -1
	s_mov_b32 s18, 0
	.p2align	6
.LBB30_81:                              ; =>This Inner Loop Header: Depth=1
	ds_read_b128 v[12:15], v2
	ds_read_b128 v[16:19], v3
	s_add_i32 s19, s19, 1
	v_add_nc_u32_e32 v3, 16, v3
	v_cmp_ge_u32_e32 vcc_lo, s19, v6
	v_add_nc_u32_e32 v2, s2, v2
	s_or_b32 s18, vcc_lo, s18
	s_waitcnt lgkmcnt(0)
	v_mul_f64 v[20:21], v[12:13], v[16:17]
	v_mul_f64 v[12:13], v[12:13], v[18:19]
	v_fma_f64 v[18:19], v[14:15], v[18:19], -v[20:21]
	v_fma_f64 v[12:13], v[16:17], -v[14:15], -v[12:13]
	v_add_f64 v[4:5], v[4:5], v[18:19]
	v_add_f64 v[0:1], v[0:1], v[12:13]
	s_andn2_b32 exec_lo, exec_lo, s18
	s_cbranch_execnz .LBB30_81
; %bb.82:
	s_or_b32 exec_lo, exec_lo, s18
	v_mad_i64_i32 v[2:3], null, v7, s8, 0
	v_add_lshl_u32 v6, s22, v6, 4
	s_or_b32 s16, s16, exec_lo
	v_lshlrev_b64 v[2:3], 4, v[2:3]
	v_add_co_u32 v2, vcc_lo, s14, v2
	v_add_co_ci_u32_e64 v3, null, s15, v3, vcc_lo
	v_add_co_u32 v2, vcc_lo, v2, v6
	v_add_co_ci_u32_e64 v3, null, 0, v3, vcc_lo
	flat_store_dwordx2 v[2:3], v[4:5]
.LBB30_83:
	s_or_b32 exec_lo, exec_lo, s17
.LBB30_84:
	s_and_saveexec_b32 s2, s16
	s_cbranch_execz .LBB30_86
; %bb.85:
	flat_store_dwordx2 v[2:3], v[0:1] offset:8
.LBB30_86:
	s_or_b32 exec_lo, exec_lo, s2
	s_and_saveexec_b32 s2, s1
	s_cbranch_execz .LBB30_98
; %bb.87:
	v_mov_b32_e32 v0, 0
	v_mov_b32_e32 v1, 0
	s_and_saveexec_b32 s1, s0
	s_cbranch_execnz .LBB30_90
; %bb.88:
	s_or_b32 exec_lo, exec_lo, s1
	s_and_b32 vcc_lo, exec_lo, s3
	s_mov_b32 s0, -1
	s_cbranch_vccnz .LBB30_91
.LBB30_89:
	s_andn2_b32 vcc_lo, exec_lo, s0
	s_cbranch_vccz .LBB30_95
	s_branch .LBB30_98
.LBB30_90:
	s_add_u32 s0, s8, 1
	s_addc_u32 s2, s9, 0
	s_mul_hi_u32 s16, s0, s22
	s_mul_i32 s2, s2, s22
	s_add_i32 s17, s16, s2
	s_mul_i32 s16, s0, s22
	v_mov_b32_e32 v0, s16
	v_mov_b32_e32 v1, s17
	s_or_b32 exec_lo, exec_lo, s1
	s_and_b32 vcc_lo, exec_lo, s3
	s_mov_b32 s0, -1
	s_cbranch_vccz .LBB30_89
.LBB30_91:
	s_mov_b32 s1, exec_lo
	v_cmpx_gt_i32_e64 s22, v9
	s_cbranch_execz .LBB30_94
; %bb.92:
	s_cmp_lt_u32 s23, 16
	v_xad_u32 v2, v9, -1, s22
	s_cselect_b32 s0, s23, 16
	s_cselect_b32 s2, 0, 0
	s_add_u32 s0, s0, -1
	s_addc_u32 s2, s2, -1
	s_mul_i32 s3, s0, s9
	s_mul_hi_u32 s16, s0, s8
	s_mul_i32 s2, s2, s8
	s_add_i32 s3, s16, s3
	v_lshl_add_u32 v4, v2, 4, v11
	s_add_i32 s3, s3, s2
	s_mul_i32 s2, s0, s8
	v_ashrrev_i32_e32 v10, 31, v9
	s_lshl_b64 s[2:3], s[2:3], 4
	v_lshlrev_b64 v[2:3], 4, v[0:1]
	s_add_u32 s0, s2, s12
	s_addc_u32 s2, s3, s13
	s_add_u32 s0, s0, s10
	s_addc_u32 s2, s2, s11
	s_add_u32 s0, s4, s0
	v_lshlrev_b64 v[5:6], 4, v[9:10]
	s_addc_u32 s2, s5, s2
	v_add_co_u32 v2, vcc_lo, s0, v2
	v_add_co_ci_u32_e64 v3, null, s2, v3, vcc_lo
	s_lshl_b64 s[4:5], s[8:9], 4
	v_add_co_u32 v2, vcc_lo, v2, v5
	v_add_co_ci_u32_e64 v3, null, v3, v6, vcc_lo
	s_sub_u32 s3, 0, s4
	v_add_co_u32 v2, vcc_lo, s6, v2
	v_add_co_ci_u32_e64 v3, null, s7, v3, vcc_lo
	s_mov_b32 s2, 0
	s_subb_u32 s4, 0, s5
	s_lshl_b32 s5, s22, 4
	s_mov_b32 s6, s22
.LBB30_93:                              ; =>This Inner Loop Header: Depth=1
	ds_read2_b64 v[5:8], v4 offset1:1
	s_add_i32 s6, s6, -1
	v_add_nc_u32_e32 v4, s5, v4
	v_cmp_le_i32_e32 vcc_lo, s6, v9
	s_or_b32 s2, vcc_lo, s2
	s_waitcnt lgkmcnt(0)
	flat_store_dwordx4 v[2:3], v[5:8]
	v_add_co_u32 v2, s0, v2, s3
	v_add_co_ci_u32_e64 v3, null, s4, v3, s0
	s_andn2_b32 exec_lo, exec_lo, s2
	s_cbranch_execnz .LBB30_93
.LBB30_94:
	s_or_b32 exec_lo, exec_lo, s1
	s_cbranch_execnz .LBB30_98
.LBB30_95:
	v_cmp_lt_i32_e32 vcc_lo, -1, v9
	s_and_b32 exec_lo, exec_lo, vcc_lo
	s_cbranch_execz .LBB30_98
; %bb.96:
	v_mov_b32_e32 v10, 0
	v_lshlrev_b64 v[0:1], 4, v[0:1]
	v_lshl_add_u32 v2, v9, 4, v11
	s_lshl_b64 s[2:3], s[8:9], 4
	s_lshl_b32 s1, s22, 4
	v_lshlrev_b64 v[3:4], 4, v[9:10]
	s_mov_b32 s4, 0
	v_add_co_u32 v0, vcc_lo, s14, v0
	v_add_co_ci_u32_e64 v1, null, s15, v1, vcc_lo
	v_add_co_u32 v0, vcc_lo, v0, v3
	v_add_co_ci_u32_e64 v1, null, v1, v4, vcc_lo
	v_add_nc_u32_e32 v3, 1, v9
.LBB30_97:                              ; =>This Inner Loop Header: Depth=1
	ds_read2_b64 v[4:7], v2 offset1:1
	v_add_nc_u32_e32 v3, -1, v3
	v_add_nc_u32_e32 v2, s1, v2
	v_cmp_eq_u32_e32 vcc_lo, 0, v3
	s_or_b32 s4, vcc_lo, s4
	s_waitcnt lgkmcnt(0)
	flat_store_dwordx4 v[0:1], v[4:7]
	v_add_co_u32 v0, s0, v0, s2
	v_add_co_ci_u32_e64 v1, null, s3, v1, s0
	s_andn2_b32 exec_lo, exec_lo, s4
	s_cbranch_execnz .LBB30_97
.LBB30_98:
	s_endpgm
	.section	.rodata,"a",@progbits
	.p2align	6, 0x0
	.amdhsa_kernel _ZL29rocblas_trtri_diagonal_kernelILi16E19rocblas_complex_numIdEPKPKS1_PKPS1_Ev13rocblas_fill_17rocblas_diagonal_iT1_lillT2_lilli
		.amdhsa_group_segment_fixed_size 16384
		.amdhsa_private_segment_fixed_size 0
		.amdhsa_kernarg_size 100
		.amdhsa_user_sgpr_count 6
		.amdhsa_user_sgpr_private_segment_buffer 1
		.amdhsa_user_sgpr_dispatch_ptr 0
		.amdhsa_user_sgpr_queue_ptr 0
		.amdhsa_user_sgpr_kernarg_segment_ptr 1
		.amdhsa_user_sgpr_dispatch_id 0
		.amdhsa_user_sgpr_flat_scratch_init 0
		.amdhsa_user_sgpr_private_segment_size 0
		.amdhsa_wavefront_size32 1
		.amdhsa_uses_dynamic_stack 0
		.amdhsa_system_sgpr_private_segment_wavefront_offset 0
		.amdhsa_system_sgpr_workgroup_id_x 1
		.amdhsa_system_sgpr_workgroup_id_y 0
		.amdhsa_system_sgpr_workgroup_id_z 1
		.amdhsa_system_sgpr_workgroup_info 0
		.amdhsa_system_vgpr_workitem_id 0
		.amdhsa_next_free_vgpr 24
		.amdhsa_next_free_sgpr 37
		.amdhsa_reserve_vcc 1
		.amdhsa_reserve_flat_scratch 0
		.amdhsa_float_round_mode_32 0
		.amdhsa_float_round_mode_16_64 0
		.amdhsa_float_denorm_mode_32 3
		.amdhsa_float_denorm_mode_16_64 3
		.amdhsa_dx10_clamp 1
		.amdhsa_ieee_mode 1
		.amdhsa_fp16_overflow 0
		.amdhsa_workgroup_processor_mode 1
		.amdhsa_memory_ordered 1
		.amdhsa_forward_progress 1
		.amdhsa_shared_vgpr_count 0
		.amdhsa_exception_fp_ieee_invalid_op 0
		.amdhsa_exception_fp_denorm_src 0
		.amdhsa_exception_fp_ieee_div_zero 0
		.amdhsa_exception_fp_ieee_overflow 0
		.amdhsa_exception_fp_ieee_underflow 0
		.amdhsa_exception_fp_ieee_inexact 0
		.amdhsa_exception_int_div_zero 0
	.end_amdhsa_kernel
	.section	.text._ZL29rocblas_trtri_diagonal_kernelILi16E19rocblas_complex_numIdEPKPKS1_PKPS1_Ev13rocblas_fill_17rocblas_diagonal_iT1_lillT2_lilli,"axG",@progbits,_ZL29rocblas_trtri_diagonal_kernelILi16E19rocblas_complex_numIdEPKPKS1_PKPS1_Ev13rocblas_fill_17rocblas_diagonal_iT1_lillT2_lilli,comdat
.Lfunc_end30:
	.size	_ZL29rocblas_trtri_diagonal_kernelILi16E19rocblas_complex_numIdEPKPKS1_PKPS1_Ev13rocblas_fill_17rocblas_diagonal_iT1_lillT2_lilli, .Lfunc_end30-_ZL29rocblas_trtri_diagonal_kernelILi16E19rocblas_complex_numIdEPKPKS1_PKPS1_Ev13rocblas_fill_17rocblas_diagonal_iT1_lillT2_lilli
                                        ; -- End function
	.set _ZL29rocblas_trtri_diagonal_kernelILi16E19rocblas_complex_numIdEPKPKS1_PKPS1_Ev13rocblas_fill_17rocblas_diagonal_iT1_lillT2_lilli.num_vgpr, 24
	.set _ZL29rocblas_trtri_diagonal_kernelILi16E19rocblas_complex_numIdEPKPKS1_PKPS1_Ev13rocblas_fill_17rocblas_diagonal_iT1_lillT2_lilli.num_agpr, 0
	.set _ZL29rocblas_trtri_diagonal_kernelILi16E19rocblas_complex_numIdEPKPKS1_PKPS1_Ev13rocblas_fill_17rocblas_diagonal_iT1_lillT2_lilli.numbered_sgpr, 37
	.set _ZL29rocblas_trtri_diagonal_kernelILi16E19rocblas_complex_numIdEPKPKS1_PKPS1_Ev13rocblas_fill_17rocblas_diagonal_iT1_lillT2_lilli.num_named_barrier, 0
	.set _ZL29rocblas_trtri_diagonal_kernelILi16E19rocblas_complex_numIdEPKPKS1_PKPS1_Ev13rocblas_fill_17rocblas_diagonal_iT1_lillT2_lilli.private_seg_size, 0
	.set _ZL29rocblas_trtri_diagonal_kernelILi16E19rocblas_complex_numIdEPKPKS1_PKPS1_Ev13rocblas_fill_17rocblas_diagonal_iT1_lillT2_lilli.uses_vcc, 1
	.set _ZL29rocblas_trtri_diagonal_kernelILi16E19rocblas_complex_numIdEPKPKS1_PKPS1_Ev13rocblas_fill_17rocblas_diagonal_iT1_lillT2_lilli.uses_flat_scratch, 0
	.set _ZL29rocblas_trtri_diagonal_kernelILi16E19rocblas_complex_numIdEPKPKS1_PKPS1_Ev13rocblas_fill_17rocblas_diagonal_iT1_lillT2_lilli.has_dyn_sized_stack, 0
	.set _ZL29rocblas_trtri_diagonal_kernelILi16E19rocblas_complex_numIdEPKPKS1_PKPS1_Ev13rocblas_fill_17rocblas_diagonal_iT1_lillT2_lilli.has_recursion, 0
	.set _ZL29rocblas_trtri_diagonal_kernelILi16E19rocblas_complex_numIdEPKPKS1_PKPS1_Ev13rocblas_fill_17rocblas_diagonal_iT1_lillT2_lilli.has_indirect_call, 0
	.section	.AMDGPU.csdata,"",@progbits
; Kernel info:
; codeLenInByte = 4292
; TotalNumSgprs: 39
; NumVgprs: 24
; ScratchSize: 0
; MemoryBound: 1
; FloatMode: 240
; IeeeMode: 1
; LDSByteSize: 16384 bytes/workgroup (compile time only)
; SGPRBlocks: 0
; VGPRBlocks: 2
; NumSGPRsForWavesPerEU: 39
; NumVGPRsForWavesPerEU: 24
; Occupancy: 16
; WaveLimiterHint : 1
; COMPUTE_PGM_RSRC2:SCRATCH_EN: 0
; COMPUTE_PGM_RSRC2:USER_SGPR: 6
; COMPUTE_PGM_RSRC2:TRAP_HANDLER: 0
; COMPUTE_PGM_RSRC2:TGID_X_EN: 1
; COMPUTE_PGM_RSRC2:TGID_Y_EN: 0
; COMPUTE_PGM_RSRC2:TGID_Z_EN: 1
; COMPUTE_PGM_RSRC2:TIDIG_COMP_CNT: 0
	.section	.text._ZL30rocblas_trtri_remainder_kernelILi16E19rocblas_complex_numIdEPKPKS1_PKPS1_Ev13rocblas_fill_17rocblas_diagonal_iT1_lillT2_lilli,"axG",@progbits,_ZL30rocblas_trtri_remainder_kernelILi16E19rocblas_complex_numIdEPKPKS1_PKPS1_Ev13rocblas_fill_17rocblas_diagonal_iT1_lillT2_lilli,comdat
	.globl	_ZL30rocblas_trtri_remainder_kernelILi16E19rocblas_complex_numIdEPKPKS1_PKPS1_Ev13rocblas_fill_17rocblas_diagonal_iT1_lillT2_lilli ; -- Begin function _ZL30rocblas_trtri_remainder_kernelILi16E19rocblas_complex_numIdEPKPKS1_PKPS1_Ev13rocblas_fill_17rocblas_diagonal_iT1_lillT2_lilli
	.p2align	8
	.type	_ZL30rocblas_trtri_remainder_kernelILi16E19rocblas_complex_numIdEPKPKS1_PKPS1_Ev13rocblas_fill_17rocblas_diagonal_iT1_lillT2_lilli,@function
_ZL30rocblas_trtri_remainder_kernelILi16E19rocblas_complex_numIdEPKPKS1_PKPS1_Ev13rocblas_fill_17rocblas_diagonal_iT1_lillT2_lilli: ; @_ZL30rocblas_trtri_remainder_kernelILi16E19rocblas_complex_numIdEPKPKS1_PKPS1_Ev13rocblas_fill_17rocblas_diagonal_iT1_lillT2_lilli
; %bb.0:
	s_load_dwordx4 s[8:11], s[4:5], 0x0
	s_waitcnt lgkmcnt(0)
	s_cmp_lt_i32 s10, 1
	s_cbranch_scc1 .LBB31_41
; %bb.1:
	s_clause 0x1
	s_load_dwordx4 s[16:19], s[4:5], 0x30
	s_load_dwordx2 s[20:21], s[4:5], 0x40
	s_mov_b32 s0, s7
	s_mov_b32 s1, 0
	s_lshl_b64 s[2:3], s[0:1], 3
	s_waitcnt lgkmcnt(0)
	s_add_u32 s0, s18, s2
	s_addc_u32 s1, s19, s3
	s_load_dwordx2 s[18:19], s[0:1], 0x0
	v_cmp_le_u32_e64 s1, s10, v0
	v_cmp_gt_u32_e64 s0, s10, v0
	s_and_saveexec_b32 s7, s0
	s_cbranch_execz .LBB31_9
; %bb.2:
	s_clause 0x1
	s_load_dwordx4 s[12:15], s[4:5], 0x10
	s_load_dword s22, s[4:5], 0x20
	s_waitcnt lgkmcnt(0)
	s_add_u32 s2, s12, s2
	s_addc_u32 s3, s13, s3
	s_load_dwordx2 s[12:13], s[2:3], 0x0
	s_mul_i32 s2, s17, s6
	s_mul_hi_u32 s3, s16, s6
	s_mul_i32 s16, s16, s6
	s_add_i32 s17, s3, s2
	s_cmpk_lg_i32 s8, 0x7a
	s_mov_b32 s2, -1
	s_cbranch_scc0 .LBB31_6
; %bb.3:
	s_add_i32 s2, s10, -1
	s_ashr_i32 s23, s22, 31
	s_mul_hi_u32 s11, s22, s2
	s_mul_i32 s3, s23, s2
	v_sub_nc_u32_e32 v1, s2, v0
	s_add_i32 s3, s11, s3
	s_mul_i32 s2, s22, s2
	s_lshl_b64 s[24:25], s[16:17], 4
	s_lshl_b64 s[26:27], s[2:3], 4
	s_lshl_b32 s3, s10, 4
	s_add_u32 s2, s24, s26
	s_addc_u32 s11, s25, s27
	s_lshl_b64 s[24:25], s[14:15], 4
	v_lshlrev_b32_e32 v3, 4, v1
	v_lshlrev_b32_e32 v1, 4, v0
	s_add_u32 s2, s2, s24
	s_addc_u32 s11, s11, s25
	s_waitcnt lgkmcnt(0)
	s_add_u32 s2, s12, s2
	s_addc_u32 s11, s13, s11
	v_add_co_u32 v1, s2, s2, v1
	s_lshl_b64 s[24:25], s[22:23], 4
	v_add_co_ci_u32_e64 v2, null, s11, 0, s2
	s_sub_u32 s11, 0, s24
	s_subb_u32 s24, 0, s25
	s_mov_b32 s23, 0
	s_mov_b32 s25, s10
.LBB31_4:                               ; =>This Inner Loop Header: Depth=1
	flat_load_dwordx4 v[4:7], v[1:2]
	s_add_i32 s25, s25, -1
	v_add_co_u32 v1, vcc_lo, v1, s11
	v_cmp_le_u32_e64 s2, s25, v0
	v_add_co_ci_u32_e64 v2, null, s24, v2, vcc_lo
	s_or_b32 s23, s2, s23
	s_waitcnt vmcnt(0) lgkmcnt(0)
	ds_write2_b64 v3, v[4:5], v[6:7] offset1:1
	v_add_nc_u32_e32 v3, s3, v3
	s_andn2_b32 exec_lo, exec_lo, s23
	s_cbranch_execnz .LBB31_4
; %bb.5:
	s_or_b32 exec_lo, exec_lo, s23
	s_mov_b32 s2, 0
.LBB31_6:
	s_and_b32 vcc_lo, exec_lo, s2
	s_cbranch_vccz .LBB31_9
; %bb.7:
	s_lshl_b64 s[2:3], s[14:15], 4
	v_lshlrev_b32_e32 v3, 4, v0
	s_waitcnt lgkmcnt(0)
	s_add_u32 s11, s12, s2
	s_addc_u32 s12, s13, s3
	s_lshl_b64 s[2:3], s[16:17], 4
	v_add_nc_u32_e32 v4, 1, v0
	s_add_u32 s2, s11, s2
	s_addc_u32 s3, s12, s3
	v_add_co_u32 v1, s2, s2, v3
	v_add_co_ci_u32_e64 v2, null, s3, 0, s2
	s_ashr_i32 s23, s22, 31
	s_lshl_b32 s3, s10, 4
	s_lshl_b64 s[12:13], s[22:23], 4
	s_mov_b32 s11, 0
.LBB31_8:                               ; =>This Inner Loop Header: Depth=1
	flat_load_dwordx4 v[5:8], v[1:2]
	v_add_nc_u32_e32 v4, -1, v4
	v_add_co_u32 v1, vcc_lo, v1, s12
	v_add_co_ci_u32_e64 v2, null, s13, v2, vcc_lo
	v_cmp_eq_u32_e64 s2, 0, v4
	s_or_b32 s11, s2, s11
	s_waitcnt vmcnt(0) lgkmcnt(0)
	ds_write2_b64 v3, v[5:6], v[7:8] offset1:1
	v_add_nc_u32_e32 v3, s3, v3
	s_andn2_b32 exec_lo, exec_lo, s11
	s_cbranch_execnz .LBB31_8
.LBB31_9:
	s_or_b32 exec_lo, exec_lo, s7
	s_waitcnt lgkmcnt(0)
	s_barrier
	buffer_gl0_inv
                                        ; implicit-def: $vgpr9
	s_and_saveexec_b32 s2, s1
	s_xor_b32 s1, exec_lo, s2
; %bb.10:
	v_mad_u64_u32 v[9:10], null, v0, s10, v[0:1]
; %bb.11:
	s_andn2_saveexec_b32 s2, s1
	s_cbranch_execz .LBB31_22
; %bb.12:
	v_mad_u64_u32 v[9:10], null, v0, s10, v[0:1]
	s_cmpk_eq_i32 s9, 0x84
	v_lshlrev_b32_e32 v10, 4, v9
	s_cbranch_scc1 .LBB31_20
; %bb.13:
	ds_read_b128 v[1:4], v10
	v_mov_b32_e32 v7, 0
	v_mov_b32_e32 v5, 0
	;; [unrolled: 1-line block ×4, first 2 shown]
	s_waitcnt lgkmcnt(0)
	v_cmp_neq_f64_e32 vcc_lo, 0, v[1:2]
	v_cmp_neq_f64_e64 s1, 0, v[3:4]
	s_or_b32 s3, vcc_lo, s1
	s_and_saveexec_b32 s1, s3
	s_cbranch_execz .LBB31_19
; %bb.14:
	v_cmp_ngt_f64_e64 s3, |v[1:2]|, |v[3:4]|
                                        ; implicit-def: $vgpr7_vgpr8
	s_and_saveexec_b32 s7, s3
	s_xor_b32 s3, exec_lo, s7
	s_cbranch_execz .LBB31_16
; %bb.15:
	v_div_scale_f64 v[5:6], null, v[3:4], v[3:4], v[1:2]
	v_div_scale_f64 v[13:14], vcc_lo, v[1:2], v[3:4], v[1:2]
	v_rcp_f64_e32 v[7:8], v[5:6]
	v_fma_f64 v[11:12], -v[5:6], v[7:8], 1.0
	v_fma_f64 v[7:8], v[7:8], v[11:12], v[7:8]
	v_fma_f64 v[11:12], -v[5:6], v[7:8], 1.0
	v_fma_f64 v[7:8], v[7:8], v[11:12], v[7:8]
	v_mul_f64 v[11:12], v[13:14], v[7:8]
	v_fma_f64 v[5:6], -v[5:6], v[11:12], v[13:14]
	v_div_fmas_f64 v[5:6], v[5:6], v[7:8], v[11:12]
	v_div_fixup_f64 v[5:6], v[5:6], v[3:4], v[1:2]
	v_fma_f64 v[1:2], v[1:2], v[5:6], v[3:4]
	v_div_scale_f64 v[3:4], null, v[1:2], v[1:2], 1.0
	v_rcp_f64_e32 v[7:8], v[3:4]
	v_fma_f64 v[11:12], -v[3:4], v[7:8], 1.0
	v_fma_f64 v[7:8], v[7:8], v[11:12], v[7:8]
	v_fma_f64 v[11:12], -v[3:4], v[7:8], 1.0
	v_fma_f64 v[7:8], v[7:8], v[11:12], v[7:8]
	v_div_scale_f64 v[11:12], vcc_lo, 1.0, v[1:2], 1.0
	v_mul_f64 v[13:14], v[11:12], v[7:8]
	v_fma_f64 v[3:4], -v[3:4], v[13:14], v[11:12]
	v_div_fmas_f64 v[3:4], v[3:4], v[7:8], v[13:14]
	v_div_fixup_f64 v[7:8], v[3:4], v[1:2], 1.0
                                        ; implicit-def: $vgpr1_vgpr2
	v_mul_f64 v[5:6], v[5:6], v[7:8]
	v_xor_b32_e32 v8, 0x80000000, v8
.LBB31_16:
	s_andn2_saveexec_b32 s3, s3
	s_cbranch_execz .LBB31_18
; %bb.17:
	v_div_scale_f64 v[5:6], null, v[1:2], v[1:2], v[3:4]
	v_div_scale_f64 v[13:14], vcc_lo, v[3:4], v[1:2], v[3:4]
	v_rcp_f64_e32 v[7:8], v[5:6]
	v_fma_f64 v[11:12], -v[5:6], v[7:8], 1.0
	v_fma_f64 v[7:8], v[7:8], v[11:12], v[7:8]
	v_fma_f64 v[11:12], -v[5:6], v[7:8], 1.0
	v_fma_f64 v[7:8], v[7:8], v[11:12], v[7:8]
	v_mul_f64 v[11:12], v[13:14], v[7:8]
	v_fma_f64 v[5:6], -v[5:6], v[11:12], v[13:14]
	v_div_fmas_f64 v[5:6], v[5:6], v[7:8], v[11:12]
	v_div_fixup_f64 v[7:8], v[5:6], v[1:2], v[3:4]
	v_fma_f64 v[1:2], v[3:4], v[7:8], v[1:2]
	v_div_scale_f64 v[3:4], null, v[1:2], v[1:2], 1.0
	v_rcp_f64_e32 v[5:6], v[3:4]
	v_fma_f64 v[11:12], -v[3:4], v[5:6], 1.0
	v_fma_f64 v[5:6], v[5:6], v[11:12], v[5:6]
	v_fma_f64 v[11:12], -v[3:4], v[5:6], 1.0
	v_fma_f64 v[5:6], v[5:6], v[11:12], v[5:6]
	v_div_scale_f64 v[11:12], vcc_lo, 1.0, v[1:2], 1.0
	v_mul_f64 v[13:14], v[11:12], v[5:6]
	v_fma_f64 v[3:4], -v[3:4], v[13:14], v[11:12]
	v_div_fmas_f64 v[3:4], v[3:4], v[5:6], v[13:14]
	v_div_fixup_f64 v[5:6], v[3:4], v[1:2], 1.0
	v_mul_f64 v[7:8], v[7:8], -v[5:6]
.LBB31_18:
	s_or_b32 exec_lo, exec_lo, s3
.LBB31_19:
	s_or_b32 exec_lo, exec_lo, s1
	s_branch .LBB31_21
.LBB31_20:
	v_mov_b32_e32 v7, 0
	v_mov_b32_e32 v5, 0
	;; [unrolled: 1-line block ×4, first 2 shown]
.LBB31_21:
	ds_write_b128 v10, v[5:8]
.LBB31_22:
	s_or_b32 exec_lo, exec_lo, s2
	v_lshlrev_b32_e32 v5, 4, v0
	s_lshl_b32 s1, s10, 4
	v_lshlrev_b32_e32 v6, 4, v9
	s_mov_b32 s2, 16
	s_add_i32 s3, s1, 16
	v_add_nc_u32_e32 v7, s1, v5
	s_mov_b32 s7, 0
	s_waitcnt lgkmcnt(0)
	s_barrier
	buffer_gl0_inv
	s_branch .LBB31_24
.LBB31_23:                              ;   in Loop: Header=BB31_24 Depth=1
	v_add_nc_u32_e32 v7, s1, v7
	s_add_i32 s2, s2, s3
	s_cmp_eq_u32 s7, s10
	s_barrier
	buffer_gl0_inv
	s_cbranch_scc1 .LBB31_33
.LBB31_24:                              ; =>This Loop Header: Depth=1
                                        ;     Child Loop BB31_29 Depth 2
	v_mov_b32_e32 v1, 0
	v_mov_b32_e32 v3, 0
	;; [unrolled: 1-line block ×4, first 2 shown]
	s_mul_i32 s9, s7, s10
	s_mov_b32 s11, exec_lo
	v_cmpx_lt_u32_e64 s7, v0
	s_cbranch_execz .LBB31_26
; %bb.25:                               ;   in Loop: Header=BB31_24 Depth=1
	s_lshl_b32 s12, s9, 4
	s_lshl_b32 s13, s7, 4
	v_add_nc_u32_e32 v8, s12, v5
	s_add_i32 s13, s13, s12
	v_mov_b32_e32 v1, s13
	ds_read_b128 v[1:4], v1
	ds_read_b128 v[8:11], v8
	s_waitcnt lgkmcnt(0)
	v_mul_f64 v[12:13], v[3:4], v[10:11]
	v_mul_f64 v[10:11], v[1:2], v[10:11]
	v_fma_f64 v[1:2], v[1:2], v[8:9], -v[12:13]
	v_fma_f64 v[3:4], v[3:4], v[8:9], v[10:11]
	v_add_f64 v[1:2], v[1:2], 0
	v_add_f64 v[3:4], v[3:4], 0
.LBB31_26:                              ;   in Loop: Header=BB31_24 Depth=1
	s_or_b32 exec_lo, exec_lo, s11
	s_add_i32 s7, s7, 1
	s_cmp_ge_i32 s7, s10
	s_barrier
	buffer_gl0_inv
	s_cbranch_scc1 .LBB31_23
; %bb.27:                               ;   in Loop: Header=BB31_24 Depth=1
	v_lshl_add_u32 v8, s9, 4, v5
	v_mov_b32_e32 v9, v7
	s_mov_b32 s9, s2
	s_mov_b32 s11, s7
	s_branch .LBB31_29
.LBB31_28:                              ;   in Loop: Header=BB31_29 Depth=2
	s_or_b32 exec_lo, exec_lo, s12
	v_add_nc_u32_e32 v9, s1, v9
	s_add_i32 s11, s11, 1
	s_add_i32 s9, s9, 16
	s_cmp_eq_u32 s10, s11
	s_barrier
	buffer_gl0_inv
	s_cbranch_scc1 .LBB31_23
.LBB31_29:                              ;   Parent Loop BB31_24 Depth=1
                                        ; =>  This Inner Loop Header: Depth=2
	s_mov_b32 s12, exec_lo
	v_cmpx_eq_u32_e64 s11, v0
	s_cbranch_execz .LBB31_31
; %bb.30:                               ;   in Loop: Header=BB31_29 Depth=2
	ds_read_b128 v[10:13], v6
	v_add_f64 v[14:15], -v[1:2], 0
	s_waitcnt lgkmcnt(0)
	v_mul_f64 v[16:17], v[3:4], v[12:13]
	v_mul_f64 v[18:19], v[3:4], v[10:11]
	v_fma_f64 v[10:11], v[14:15], v[10:11], v[16:17]
	v_fma_f64 v[12:13], v[14:15], v[12:13], -v[18:19]
	ds_write_b128 v8, v[10:13]
.LBB31_31:                              ;   in Loop: Header=BB31_29 Depth=2
	s_or_b32 exec_lo, exec_lo, s12
	s_mov_b32 s12, exec_lo
	s_waitcnt lgkmcnt(0)
	s_barrier
	buffer_gl0_inv
	v_cmpx_lt_u32_e64 s11, v0
	s_cbranch_execz .LBB31_28
; %bb.32:                               ;   in Loop: Header=BB31_29 Depth=2
	v_mov_b32_e32 v14, s9
	ds_read_b128 v[10:13], v9
	ds_read_b128 v[14:17], v14
	s_waitcnt lgkmcnt(0)
	v_mul_f64 v[18:19], v[16:17], v[12:13]
	v_mul_f64 v[12:13], v[14:15], v[12:13]
	v_fma_f64 v[14:15], v[14:15], v[10:11], -v[18:19]
	v_fma_f64 v[10:11], v[16:17], v[10:11], v[12:13]
	v_add_f64 v[1:2], v[1:2], v[14:15]
	v_add_f64 v[3:4], v[3:4], v[10:11]
	s_branch .LBB31_28
.LBB31_33:
	s_and_saveexec_b32 s2, s0
	s_cbranch_execz .LBB31_41
; %bb.34:
	s_clause 0x1
	s_load_dwordx2 s[12:13], s[4:5], 0x58
	s_load_dword s2, s[4:5], 0x48
	s_waitcnt lgkmcnt(0)
	s_mul_i32 s0, s13, s6
	s_mul_hi_u32 s3, s12, s6
	s_mul_i32 s4, s12, s6
	s_add_i32 s5, s3, s0
	s_cmpk_lg_i32 s8, 0x7a
	s_mov_b32 s0, -1
	s_cbranch_scc0 .LBB31_38
; %bb.35:
	s_add_i32 s0, s10, -1
	s_ashr_i32 s3, s2, 31
	s_mul_hi_u32 s7, s2, s0
	s_mul_i32 s6, s3, s0
	v_sub_nc_u32_e32 v1, s0, v0
	s_add_i32 s7, s7, s6
	s_mul_i32 s6, s2, s0
	s_lshl_b64 s[8:9], s[4:5], 4
	s_lshl_b64 s[6:7], s[6:7], 4
	v_lshlrev_b32_e32 v3, 4, v1
	s_add_u32 s0, s8, s6
	s_addc_u32 s8, s9, s7
	s_lshl_b64 s[6:7], s[20:21], 4
	v_lshlrev_b32_e32 v1, 4, v0
	s_add_u32 s0, s0, s6
	s_addc_u32 s6, s8, s7
	s_add_u32 s0, s18, s0
	s_addc_u32 s8, s19, s6
	v_add_co_u32 v1, s0, s0, v1
	s_lshl_b64 s[6:7], s[2:3], 4
	v_add_co_ci_u32_e64 v2, null, s8, 0, s0
	s_sub_u32 s3, 0, s6
	s_subb_u32 s7, 0, s7
	s_mov_b32 s6, 0
.LBB31_36:                              ; =>This Inner Loop Header: Depth=1
	ds_read2_b64 v[6:9], v3 offset1:1
	s_add_i32 s10, s10, -1
	v_add_nc_u32_e32 v3, s1, v3
	v_cmp_le_u32_e32 vcc_lo, s10, v0
	s_or_b32 s6, vcc_lo, s6
	s_waitcnt lgkmcnt(0)
	flat_store_dwordx4 v[1:2], v[6:9]
	v_add_co_u32 v1, s0, v1, s3
	v_add_co_ci_u32_e64 v2, null, s7, v2, s0
	s_andn2_b32 exec_lo, exec_lo, s6
	s_cbranch_execnz .LBB31_36
; %bb.37:
	s_or_b32 exec_lo, exec_lo, s6
	s_mov_b32 s0, 0
.LBB31_38:
	s_and_b32 vcc_lo, exec_lo, s0
	s_cbranch_vccz .LBB31_41
; %bb.39:
	s_lshl_b64 s[6:7], s[20:21], 4
	v_lshlrev_b32_e32 v1, 4, v0
	s_add_u32 s0, s18, s6
	s_addc_u32 s3, s19, s7
	s_lshl_b64 s[4:5], s[4:5], 4
	v_add_nc_u32_e32 v0, 1, v0
	s_add_u32 s0, s0, s4
	s_addc_u32 s4, s3, s5
	v_add_co_u32 v1, s0, s0, v1
	v_add_co_ci_u32_e64 v2, null, s4, 0, s0
	s_ashr_i32 s3, s2, 31
	s_mov_b32 s4, 0
	s_lshl_b64 s[2:3], s[2:3], 4
.LBB31_40:                              ; =>This Inner Loop Header: Depth=1
	ds_read2_b64 v[6:9], v5 offset1:1
	v_add_nc_u32_e32 v0, -1, v0
	v_add_nc_u32_e32 v5, s1, v5
	v_cmp_eq_u32_e32 vcc_lo, 0, v0
	s_or_b32 s4, vcc_lo, s4
	s_waitcnt lgkmcnt(0)
	flat_store_dwordx4 v[1:2], v[6:9]
	v_add_co_u32 v1, s0, v1, s2
	v_add_co_ci_u32_e64 v2, null, s3, v2, s0
	s_andn2_b32 exec_lo, exec_lo, s4
	s_cbranch_execnz .LBB31_40
.LBB31_41:
	s_endpgm
	.section	.rodata,"a",@progbits
	.p2align	6, 0x0
	.amdhsa_kernel _ZL30rocblas_trtri_remainder_kernelILi16E19rocblas_complex_numIdEPKPKS1_PKPS1_Ev13rocblas_fill_17rocblas_diagonal_iT1_lillT2_lilli
		.amdhsa_group_segment_fixed_size 16384
		.amdhsa_private_segment_fixed_size 0
		.amdhsa_kernarg_size 100
		.amdhsa_user_sgpr_count 6
		.amdhsa_user_sgpr_private_segment_buffer 1
		.amdhsa_user_sgpr_dispatch_ptr 0
		.amdhsa_user_sgpr_queue_ptr 0
		.amdhsa_user_sgpr_kernarg_segment_ptr 1
		.amdhsa_user_sgpr_dispatch_id 0
		.amdhsa_user_sgpr_flat_scratch_init 0
		.amdhsa_user_sgpr_private_segment_size 0
		.amdhsa_wavefront_size32 1
		.amdhsa_uses_dynamic_stack 0
		.amdhsa_system_sgpr_private_segment_wavefront_offset 0
		.amdhsa_system_sgpr_workgroup_id_x 1
		.amdhsa_system_sgpr_workgroup_id_y 0
		.amdhsa_system_sgpr_workgroup_id_z 1
		.amdhsa_system_sgpr_workgroup_info 0
		.amdhsa_system_vgpr_workitem_id 0
		.amdhsa_next_free_vgpr 20
		.amdhsa_next_free_sgpr 28
		.amdhsa_reserve_vcc 1
		.amdhsa_reserve_flat_scratch 0
		.amdhsa_float_round_mode_32 0
		.amdhsa_float_round_mode_16_64 0
		.amdhsa_float_denorm_mode_32 3
		.amdhsa_float_denorm_mode_16_64 3
		.amdhsa_dx10_clamp 1
		.amdhsa_ieee_mode 1
		.amdhsa_fp16_overflow 0
		.amdhsa_workgroup_processor_mode 1
		.amdhsa_memory_ordered 1
		.amdhsa_forward_progress 1
		.amdhsa_shared_vgpr_count 0
		.amdhsa_exception_fp_ieee_invalid_op 0
		.amdhsa_exception_fp_denorm_src 0
		.amdhsa_exception_fp_ieee_div_zero 0
		.amdhsa_exception_fp_ieee_overflow 0
		.amdhsa_exception_fp_ieee_underflow 0
		.amdhsa_exception_fp_ieee_inexact 0
		.amdhsa_exception_int_div_zero 0
	.end_amdhsa_kernel
	.section	.text._ZL30rocblas_trtri_remainder_kernelILi16E19rocblas_complex_numIdEPKPKS1_PKPS1_Ev13rocblas_fill_17rocblas_diagonal_iT1_lillT2_lilli,"axG",@progbits,_ZL30rocblas_trtri_remainder_kernelILi16E19rocblas_complex_numIdEPKPKS1_PKPS1_Ev13rocblas_fill_17rocblas_diagonal_iT1_lillT2_lilli,comdat
.Lfunc_end31:
	.size	_ZL30rocblas_trtri_remainder_kernelILi16E19rocblas_complex_numIdEPKPKS1_PKPS1_Ev13rocblas_fill_17rocblas_diagonal_iT1_lillT2_lilli, .Lfunc_end31-_ZL30rocblas_trtri_remainder_kernelILi16E19rocblas_complex_numIdEPKPKS1_PKPS1_Ev13rocblas_fill_17rocblas_diagonal_iT1_lillT2_lilli
                                        ; -- End function
	.set _ZL30rocblas_trtri_remainder_kernelILi16E19rocblas_complex_numIdEPKPKS1_PKPS1_Ev13rocblas_fill_17rocblas_diagonal_iT1_lillT2_lilli.num_vgpr, 20
	.set _ZL30rocblas_trtri_remainder_kernelILi16E19rocblas_complex_numIdEPKPKS1_PKPS1_Ev13rocblas_fill_17rocblas_diagonal_iT1_lillT2_lilli.num_agpr, 0
	.set _ZL30rocblas_trtri_remainder_kernelILi16E19rocblas_complex_numIdEPKPKS1_PKPS1_Ev13rocblas_fill_17rocblas_diagonal_iT1_lillT2_lilli.numbered_sgpr, 28
	.set _ZL30rocblas_trtri_remainder_kernelILi16E19rocblas_complex_numIdEPKPKS1_PKPS1_Ev13rocblas_fill_17rocblas_diagonal_iT1_lillT2_lilli.num_named_barrier, 0
	.set _ZL30rocblas_trtri_remainder_kernelILi16E19rocblas_complex_numIdEPKPKS1_PKPS1_Ev13rocblas_fill_17rocblas_diagonal_iT1_lillT2_lilli.private_seg_size, 0
	.set _ZL30rocblas_trtri_remainder_kernelILi16E19rocblas_complex_numIdEPKPKS1_PKPS1_Ev13rocblas_fill_17rocblas_diagonal_iT1_lillT2_lilli.uses_vcc, 1
	.set _ZL30rocblas_trtri_remainder_kernelILi16E19rocblas_complex_numIdEPKPKS1_PKPS1_Ev13rocblas_fill_17rocblas_diagonal_iT1_lillT2_lilli.uses_flat_scratch, 0
	.set _ZL30rocblas_trtri_remainder_kernelILi16E19rocblas_complex_numIdEPKPKS1_PKPS1_Ev13rocblas_fill_17rocblas_diagonal_iT1_lillT2_lilli.has_dyn_sized_stack, 0
	.set _ZL30rocblas_trtri_remainder_kernelILi16E19rocblas_complex_numIdEPKPKS1_PKPS1_Ev13rocblas_fill_17rocblas_diagonal_iT1_lillT2_lilli.has_recursion, 0
	.set _ZL30rocblas_trtri_remainder_kernelILi16E19rocblas_complex_numIdEPKPKS1_PKPS1_Ev13rocblas_fill_17rocblas_diagonal_iT1_lillT2_lilli.has_indirect_call, 0
	.section	.AMDGPU.csdata,"",@progbits
; Kernel info:
; codeLenInByte = 1900
; TotalNumSgprs: 30
; NumVgprs: 20
; ScratchSize: 0
; MemoryBound: 0
; FloatMode: 240
; IeeeMode: 1
; LDSByteSize: 16384 bytes/workgroup (compile time only)
; SGPRBlocks: 0
; VGPRBlocks: 2
; NumSGPRsForWavesPerEU: 30
; NumVGPRsForWavesPerEU: 20
; Occupancy: 16
; WaveLimiterHint : 0
; COMPUTE_PGM_RSRC2:SCRATCH_EN: 0
; COMPUTE_PGM_RSRC2:USER_SGPR: 6
; COMPUTE_PGM_RSRC2:TRAP_HANDLER: 0
; COMPUTE_PGM_RSRC2:TGID_X_EN: 1
; COMPUTE_PGM_RSRC2:TGID_Y_EN: 0
; COMPUTE_PGM_RSRC2:TGID_Z_EN: 1
; COMPUTE_PGM_RSRC2:TIDIG_COMP_CNT: 0
	.section	.AMDGPU.gpr_maximums,"",@progbits
	.set amdgpu.max_num_vgpr, 0
	.set amdgpu.max_num_agpr, 0
	.set amdgpu.max_num_sgpr, 0
	.section	.AMDGPU.csdata,"",@progbits
	.type	__hip_cuid_75e29e1669de492b,@object ; @__hip_cuid_75e29e1669de492b
	.section	.bss,"aw",@nobits
	.globl	__hip_cuid_75e29e1669de492b
__hip_cuid_75e29e1669de492b:
	.byte	0                               ; 0x0
	.size	__hip_cuid_75e29e1669de492b, 1

	.ident	"AMD clang version 22.0.0git (https://github.com/RadeonOpenCompute/llvm-project roc-7.2.4 26084 f58b06dce1f9c15707c5f808fd002e18c2accf7e)"
	.section	".note.GNU-stack","",@progbits
	.addrsig
	.addrsig_sym __hip_cuid_75e29e1669de492b
	.amdgpu_metadata
---
amdhsa.kernels:
  - .args:
      - .address_space:  global
        .offset:         0
        .size:           8
        .value_kind:     global_buffer
      - .offset:         8
        .size:           4
        .value_kind:     by_value
      - .offset:         12
        .size:           4
        .value_kind:     by_value
      - .offset:         16
        .size:           8
        .value_kind:     by_value
      - .offset:         24
        .size:           4
        .value_kind:     by_value
      - .offset:         32
        .size:           8
        .value_kind:     by_value
      - .address_space:  global
        .offset:         40
        .size:           8
        .value_kind:     global_buffer
      - .offset:         48
        .size:           8
        .value_kind:     by_value
      - .offset:         56
        .size:           8
        .value_kind:     by_value
      - .offset:         64
        .size:           4
        .value_kind:     by_value
      - .offset:         68
        .size:           4
        .value_kind:     by_value
      - .offset:         72
        .size:           4
        .value_kind:     hidden_block_count_x
      - .offset:         76
        .size:           4
        .value_kind:     hidden_block_count_y
      - .offset:         80
        .size:           4
        .value_kind:     hidden_block_count_z
      - .offset:         84
        .size:           2
        .value_kind:     hidden_group_size_x
      - .offset:         86
        .size:           2
        .value_kind:     hidden_group_size_y
      - .offset:         88
        .size:           2
        .value_kind:     hidden_group_size_z
      - .offset:         90
        .size:           2
        .value_kind:     hidden_remainder_x
      - .offset:         92
        .size:           2
        .value_kind:     hidden_remainder_y
      - .offset:         94
        .size:           2
        .value_kind:     hidden_remainder_z
      - .offset:         112
        .size:           8
        .value_kind:     hidden_global_offset_x
      - .offset:         120
        .size:           8
        .value_kind:     hidden_global_offset_y
      - .offset:         128
        .size:           8
        .value_kind:     hidden_global_offset_z
      - .offset:         136
        .size:           2
        .value_kind:     hidden_grid_dims
    .group_segment_fixed_size: 0
    .kernarg_segment_align: 8
    .kernarg_segment_size: 328
    .language:       OpenCL C
    .language_version:
      - 2
      - 0
    .max_flat_workgroup_size: 128
    .name:           _ZL18rocblas_trtri_fillILi128EfPfEvP15_rocblas_handle13rocblas_fill_ililT1_llii
    .private_segment_fixed_size: 0
    .sgpr_count:     33
    .sgpr_spill_count: 0
    .symbol:         _ZL18rocblas_trtri_fillILi128EfPfEvP15_rocblas_handle13rocblas_fill_ililT1_llii.kd
    .uniform_work_group_size: 1
    .uses_dynamic_stack: false
    .vgpr_count:     26
    .vgpr_spill_count: 0
    .wavefront_size: 32
    .workgroup_processor_mode: 1
  - .args:
      - .offset:         0
        .size:           4
        .value_kind:     by_value
      - .offset:         4
        .size:           4
        .value_kind:     by_value
      - .offset:         8
        .size:           4
        .value_kind:     by_value
      - .address_space:  global
        .offset:         16
        .size:           8
        .value_kind:     global_buffer
      - .offset:         24
        .size:           8
        .value_kind:     by_value
      - .offset:         32
        .size:           4
        .value_kind:     by_value
      - .offset:         40
        .size:           8
        .value_kind:     by_value
      - .offset:         48
        .size:           8
        .value_kind:     by_value
      - .address_space:  global
        .offset:         56
        .size:           8
        .value_kind:     global_buffer
      - .offset:         64
        .size:           8
        .value_kind:     by_value
      - .offset:         72
        .size:           4
        .value_kind:     by_value
      - .offset:         80
        .size:           8
        .value_kind:     by_value
      - .offset:         88
        .size:           8
        .value_kind:     by_value
      - .offset:         96
        .size:           4
        .value_kind:     by_value
    .group_segment_fixed_size: 1024
    .kernarg_segment_align: 8
    .kernarg_segment_size: 100
    .language:       OpenCL C
    .language_version:
      - 2
      - 0
    .max_flat_workgroup_size: 16
    .name:           _ZL26rocblas_trtri_small_kernelILi16EfPKfPfEv13rocblas_fill_17rocblas_diagonal_iT1_lillT2_lilli
    .private_segment_fixed_size: 0
    .sgpr_count:     33
    .sgpr_spill_count: 0
    .symbol:         _ZL26rocblas_trtri_small_kernelILi16EfPKfPfEv13rocblas_fill_17rocblas_diagonal_iT1_lillT2_lilli.kd
    .uniform_work_group_size: 1
    .uses_dynamic_stack: false
    .vgpr_count:     9
    .vgpr_spill_count: 0
    .wavefront_size: 32
    .workgroup_processor_mode: 1
  - .args:
      - .offset:         0
        .size:           4
        .value_kind:     by_value
      - .offset:         4
        .size:           4
        .value_kind:     by_value
      - .offset:         8
        .size:           4
        .value_kind:     by_value
      - .address_space:  global
        .offset:         16
        .size:           8
        .value_kind:     global_buffer
      - .offset:         24
        .size:           8
        .value_kind:     by_value
      - .offset:         32
        .size:           4
        .value_kind:     by_value
      - .offset:         40
        .size:           8
        .value_kind:     by_value
      - .offset:         48
        .size:           8
        .value_kind:     by_value
      - .address_space:  global
        .offset:         56
        .size:           8
        .value_kind:     global_buffer
      - .offset:         64
        .size:           8
        .value_kind:     by_value
      - .offset:         72
        .size:           4
        .value_kind:     by_value
      - .offset:         80
        .size:           8
        .value_kind:     by_value
      - .offset:         88
        .size:           8
        .value_kind:     by_value
      - .offset:         96
        .size:           4
        .value_kind:     by_value
    .group_segment_fixed_size: 4096
    .kernarg_segment_align: 8
    .kernarg_segment_size: 100
    .language:       OpenCL C
    .language_version:
      - 2
      - 0
    .max_flat_workgroup_size: 256
    .name:           _ZL29rocblas_trtri_diagonal_kernelILi16EfPKfPfEv13rocblas_fill_17rocblas_diagonal_iT1_lillT2_lilli
    .private_segment_fixed_size: 0
    .sgpr_count:     42
    .sgpr_spill_count: 0
    .symbol:         _ZL29rocblas_trtri_diagonal_kernelILi16EfPKfPfEv13rocblas_fill_17rocblas_diagonal_iT1_lillT2_lilli.kd
    .uniform_work_group_size: 1
    .uses_dynamic_stack: false
    .vgpr_count:     13
    .vgpr_spill_count: 0
    .wavefront_size: 32
    .workgroup_processor_mode: 1
  - .args:
      - .offset:         0
        .size:           4
        .value_kind:     by_value
      - .offset:         4
        .size:           4
        .value_kind:     by_value
      - .offset:         8
        .size:           4
        .value_kind:     by_value
      - .address_space:  global
        .offset:         16
        .size:           8
        .value_kind:     global_buffer
      - .offset:         24
        .size:           8
        .value_kind:     by_value
      - .offset:         32
        .size:           4
        .value_kind:     by_value
      - .offset:         40
        .size:           8
        .value_kind:     by_value
      - .offset:         48
        .size:           8
        .value_kind:     by_value
      - .address_space:  global
        .offset:         56
        .size:           8
        .value_kind:     global_buffer
      - .offset:         64
        .size:           8
        .value_kind:     by_value
      - .offset:         72
        .size:           4
        .value_kind:     by_value
      - .offset:         80
        .size:           8
        .value_kind:     by_value
      - .offset:         88
        .size:           8
        .value_kind:     by_value
      - .offset:         96
        .size:           4
        .value_kind:     by_value
    .group_segment_fixed_size: 4096
    .kernarg_segment_align: 8
    .kernarg_segment_size: 100
    .language:       OpenCL C
    .language_version:
      - 2
      - 0
    .max_flat_workgroup_size: 1024
    .name:           _ZL30rocblas_trtri_remainder_kernelILi16EfPKfPfEv13rocblas_fill_17rocblas_diagonal_iT1_lillT2_lilli
    .private_segment_fixed_size: 0
    .sgpr_count:     33
    .sgpr_spill_count: 0
    .symbol:         _ZL30rocblas_trtri_remainder_kernelILi16EfPKfPfEv13rocblas_fill_17rocblas_diagonal_iT1_lillT2_lilli.kd
    .uniform_work_group_size: 1
    .uses_dynamic_stack: false
    .vgpr_count:     9
    .vgpr_spill_count: 0
    .wavefront_size: 32
    .workgroup_processor_mode: 1
  - .args:
      - .address_space:  global
        .offset:         0
        .size:           8
        .value_kind:     global_buffer
      - .offset:         8
        .size:           4
        .value_kind:     by_value
      - .offset:         12
        .size:           4
        .value_kind:     by_value
      - .offset:         16
        .size:           8
        .value_kind:     by_value
      - .offset:         24
        .size:           4
        .value_kind:     by_value
      - .offset:         32
        .size:           8
        .value_kind:     by_value
      - .address_space:  global
        .offset:         40
        .size:           8
        .value_kind:     global_buffer
      - .offset:         48
        .size:           8
        .value_kind:     by_value
      - .offset:         56
        .size:           8
        .value_kind:     by_value
      - .offset:         64
        .size:           4
        .value_kind:     by_value
      - .offset:         68
        .size:           4
        .value_kind:     by_value
      - .offset:         72
        .size:           4
        .value_kind:     hidden_block_count_x
      - .offset:         76
        .size:           4
        .value_kind:     hidden_block_count_y
      - .offset:         80
        .size:           4
        .value_kind:     hidden_block_count_z
      - .offset:         84
        .size:           2
        .value_kind:     hidden_group_size_x
      - .offset:         86
        .size:           2
        .value_kind:     hidden_group_size_y
      - .offset:         88
        .size:           2
        .value_kind:     hidden_group_size_z
      - .offset:         90
        .size:           2
        .value_kind:     hidden_remainder_x
      - .offset:         92
        .size:           2
        .value_kind:     hidden_remainder_y
      - .offset:         94
        .size:           2
        .value_kind:     hidden_remainder_z
      - .offset:         112
        .size:           8
        .value_kind:     hidden_global_offset_x
      - .offset:         120
        .size:           8
        .value_kind:     hidden_global_offset_y
      - .offset:         128
        .size:           8
        .value_kind:     hidden_global_offset_z
      - .offset:         136
        .size:           2
        .value_kind:     hidden_grid_dims
    .group_segment_fixed_size: 0
    .kernarg_segment_align: 8
    .kernarg_segment_size: 328
    .language:       OpenCL C
    .language_version:
      - 2
      - 0
    .max_flat_workgroup_size: 128
    .name:           _ZL18rocblas_trtri_fillILi128EdPdEvP15_rocblas_handle13rocblas_fill_ililT1_llii
    .private_segment_fixed_size: 0
    .sgpr_count:     33
    .sgpr_spill_count: 0
    .symbol:         _ZL18rocblas_trtri_fillILi128EdPdEvP15_rocblas_handle13rocblas_fill_ililT1_llii.kd
    .uniform_work_group_size: 1
    .uses_dynamic_stack: false
    .vgpr_count:     26
    .vgpr_spill_count: 0
    .wavefront_size: 32
    .workgroup_processor_mode: 1
  - .args:
      - .offset:         0
        .size:           4
        .value_kind:     by_value
      - .offset:         4
        .size:           4
        .value_kind:     by_value
      - .offset:         8
        .size:           4
        .value_kind:     by_value
      - .address_space:  global
        .offset:         16
        .size:           8
        .value_kind:     global_buffer
      - .offset:         24
        .size:           8
        .value_kind:     by_value
      - .offset:         32
        .size:           4
        .value_kind:     by_value
      - .offset:         40
        .size:           8
        .value_kind:     by_value
      - .offset:         48
        .size:           8
        .value_kind:     by_value
      - .address_space:  global
        .offset:         56
        .size:           8
        .value_kind:     global_buffer
      - .offset:         64
        .size:           8
        .value_kind:     by_value
      - .offset:         72
        .size:           4
        .value_kind:     by_value
      - .offset:         80
        .size:           8
        .value_kind:     by_value
      - .offset:         88
        .size:           8
        .value_kind:     by_value
      - .offset:         96
        .size:           4
        .value_kind:     by_value
    .group_segment_fixed_size: 2048
    .kernarg_segment_align: 8
    .kernarg_segment_size: 100
    .language:       OpenCL C
    .language_version:
      - 2
      - 0
    .max_flat_workgroup_size: 16
    .name:           _ZL26rocblas_trtri_small_kernelILi16EdPKdPdEv13rocblas_fill_17rocblas_diagonal_iT1_lillT2_lilli
    .private_segment_fixed_size: 0
    .sgpr_count:     33
    .sgpr_spill_count: 0
    .symbol:         _ZL26rocblas_trtri_small_kernelILi16EdPKdPdEv13rocblas_fill_17rocblas_diagonal_iT1_lillT2_lilli.kd
    .uniform_work_group_size: 1
    .uses_dynamic_stack: false
    .vgpr_count:     13
    .vgpr_spill_count: 0
    .wavefront_size: 32
    .workgroup_processor_mode: 1
  - .args:
      - .offset:         0
        .size:           4
        .value_kind:     by_value
      - .offset:         4
        .size:           4
        .value_kind:     by_value
      - .offset:         8
        .size:           4
        .value_kind:     by_value
      - .address_space:  global
        .offset:         16
        .size:           8
        .value_kind:     global_buffer
      - .offset:         24
        .size:           8
        .value_kind:     by_value
      - .offset:         32
        .size:           4
        .value_kind:     by_value
      - .offset:         40
        .size:           8
        .value_kind:     by_value
      - .offset:         48
        .size:           8
        .value_kind:     by_value
      - .address_space:  global
        .offset:         56
        .size:           8
        .value_kind:     global_buffer
      - .offset:         64
        .size:           8
        .value_kind:     by_value
      - .offset:         72
        .size:           4
        .value_kind:     by_value
      - .offset:         80
        .size:           8
        .value_kind:     by_value
      - .offset:         88
        .size:           8
        .value_kind:     by_value
      - .offset:         96
        .size:           4
        .value_kind:     by_value
    .group_segment_fixed_size: 8192
    .kernarg_segment_align: 8
    .kernarg_segment_size: 100
    .language:       OpenCL C
    .language_version:
      - 2
      - 0
    .max_flat_workgroup_size: 256
    .name:           _ZL29rocblas_trtri_diagonal_kernelILi16EdPKdPdEv13rocblas_fill_17rocblas_diagonal_iT1_lillT2_lilli
    .private_segment_fixed_size: 0
    .sgpr_count:     42
    .sgpr_spill_count: 0
    .symbol:         _ZL29rocblas_trtri_diagonal_kernelILi16EdPKdPdEv13rocblas_fill_17rocblas_diagonal_iT1_lillT2_lilli.kd
    .uniform_work_group_size: 1
    .uses_dynamic_stack: false
    .vgpr_count:     16
    .vgpr_spill_count: 0
    .wavefront_size: 32
    .workgroup_processor_mode: 1
  - .args:
      - .offset:         0
        .size:           4
        .value_kind:     by_value
      - .offset:         4
        .size:           4
        .value_kind:     by_value
      - .offset:         8
        .size:           4
        .value_kind:     by_value
      - .address_space:  global
        .offset:         16
        .size:           8
        .value_kind:     global_buffer
      - .offset:         24
        .size:           8
        .value_kind:     by_value
      - .offset:         32
        .size:           4
        .value_kind:     by_value
      - .offset:         40
        .size:           8
        .value_kind:     by_value
      - .offset:         48
        .size:           8
        .value_kind:     by_value
      - .address_space:  global
        .offset:         56
        .size:           8
        .value_kind:     global_buffer
      - .offset:         64
        .size:           8
        .value_kind:     by_value
      - .offset:         72
        .size:           4
        .value_kind:     by_value
      - .offset:         80
        .size:           8
        .value_kind:     by_value
      - .offset:         88
        .size:           8
        .value_kind:     by_value
      - .offset:         96
        .size:           4
        .value_kind:     by_value
    .group_segment_fixed_size: 8192
    .kernarg_segment_align: 8
    .kernarg_segment_size: 100
    .language:       OpenCL C
    .language_version:
      - 2
      - 0
    .max_flat_workgroup_size: 1024
    .name:           _ZL30rocblas_trtri_remainder_kernelILi16EdPKdPdEv13rocblas_fill_17rocblas_diagonal_iT1_lillT2_lilli
    .private_segment_fixed_size: 0
    .sgpr_count:     33
    .sgpr_spill_count: 0
    .symbol:         _ZL30rocblas_trtri_remainder_kernelILi16EdPKdPdEv13rocblas_fill_17rocblas_diagonal_iT1_lillT2_lilli.kd
    .uniform_work_group_size: 1
    .uses_dynamic_stack: false
    .vgpr_count:     13
    .vgpr_spill_count: 0
    .wavefront_size: 32
    .workgroup_processor_mode: 1
  - .args:
      - .address_space:  global
        .offset:         0
        .size:           8
        .value_kind:     global_buffer
      - .offset:         8
        .size:           4
        .value_kind:     by_value
      - .offset:         12
        .size:           4
        .value_kind:     by_value
      - .offset:         16
        .size:           8
        .value_kind:     by_value
      - .offset:         24
        .size:           4
        .value_kind:     by_value
      - .offset:         32
        .size:           8
        .value_kind:     by_value
      - .address_space:  global
        .offset:         40
        .size:           8
        .value_kind:     global_buffer
      - .offset:         48
        .size:           8
        .value_kind:     by_value
      - .offset:         56
        .size:           8
        .value_kind:     by_value
      - .offset:         64
        .size:           4
        .value_kind:     by_value
      - .offset:         68
        .size:           4
        .value_kind:     by_value
      - .offset:         72
        .size:           4
        .value_kind:     hidden_block_count_x
      - .offset:         76
        .size:           4
        .value_kind:     hidden_block_count_y
      - .offset:         80
        .size:           4
        .value_kind:     hidden_block_count_z
      - .offset:         84
        .size:           2
        .value_kind:     hidden_group_size_x
      - .offset:         86
        .size:           2
        .value_kind:     hidden_group_size_y
      - .offset:         88
        .size:           2
        .value_kind:     hidden_group_size_z
      - .offset:         90
        .size:           2
        .value_kind:     hidden_remainder_x
      - .offset:         92
        .size:           2
        .value_kind:     hidden_remainder_y
      - .offset:         94
        .size:           2
        .value_kind:     hidden_remainder_z
      - .offset:         112
        .size:           8
        .value_kind:     hidden_global_offset_x
      - .offset:         120
        .size:           8
        .value_kind:     hidden_global_offset_y
      - .offset:         128
        .size:           8
        .value_kind:     hidden_global_offset_z
      - .offset:         136
        .size:           2
        .value_kind:     hidden_grid_dims
    .group_segment_fixed_size: 0
    .kernarg_segment_align: 8
    .kernarg_segment_size: 328
    .language:       OpenCL C
    .language_version:
      - 2
      - 0
    .max_flat_workgroup_size: 128
    .name:           _ZL18rocblas_trtri_fillILi128E19rocblas_complex_numIfEPS1_EvP15_rocblas_handle13rocblas_fill_ililT1_llii
    .private_segment_fixed_size: 0
    .sgpr_count:     33
    .sgpr_spill_count: 0
    .symbol:         _ZL18rocblas_trtri_fillILi128E19rocblas_complex_numIfEPS1_EvP15_rocblas_handle13rocblas_fill_ililT1_llii.kd
    .uniform_work_group_size: 1
    .uses_dynamic_stack: false
    .vgpr_count:     26
    .vgpr_spill_count: 0
    .wavefront_size: 32
    .workgroup_processor_mode: 1
  - .args:
      - .offset:         0
        .size:           4
        .value_kind:     by_value
      - .offset:         4
        .size:           4
        .value_kind:     by_value
      - .offset:         8
        .size:           4
        .value_kind:     by_value
      - .address_space:  global
        .offset:         16
        .size:           8
        .value_kind:     global_buffer
      - .offset:         24
        .size:           8
        .value_kind:     by_value
      - .offset:         32
        .size:           4
        .value_kind:     by_value
      - .offset:         40
        .size:           8
        .value_kind:     by_value
      - .offset:         48
        .size:           8
        .value_kind:     by_value
      - .address_space:  global
        .offset:         56
        .size:           8
        .value_kind:     global_buffer
      - .offset:         64
        .size:           8
        .value_kind:     by_value
      - .offset:         72
        .size:           4
        .value_kind:     by_value
      - .offset:         80
        .size:           8
        .value_kind:     by_value
      - .offset:         88
        .size:           8
        .value_kind:     by_value
      - .offset:         96
        .size:           4
        .value_kind:     by_value
    .group_segment_fixed_size: 2048
    .kernarg_segment_align: 8
    .kernarg_segment_size: 100
    .language:       OpenCL C
    .language_version:
      - 2
      - 0
    .max_flat_workgroup_size: 16
    .name:           _ZL26rocblas_trtri_small_kernelILi16E19rocblas_complex_numIfEPKS1_PS1_Ev13rocblas_fill_17rocblas_diagonal_iT1_lillT2_lilli
    .private_segment_fixed_size: 0
    .sgpr_count:     33
    .sgpr_spill_count: 0
    .symbol:         _ZL26rocblas_trtri_small_kernelILi16E19rocblas_complex_numIfEPKS1_PS1_Ev13rocblas_fill_17rocblas_diagonal_iT1_lillT2_lilli.kd
    .uniform_work_group_size: 1
    .uses_dynamic_stack: false
    .vgpr_count:     13
    .vgpr_spill_count: 0
    .wavefront_size: 32
    .workgroup_processor_mode: 1
  - .args:
      - .offset:         0
        .size:           4
        .value_kind:     by_value
      - .offset:         4
        .size:           4
        .value_kind:     by_value
      - .offset:         8
        .size:           4
        .value_kind:     by_value
      - .address_space:  global
        .offset:         16
        .size:           8
        .value_kind:     global_buffer
      - .offset:         24
        .size:           8
        .value_kind:     by_value
      - .offset:         32
        .size:           4
        .value_kind:     by_value
      - .offset:         40
        .size:           8
        .value_kind:     by_value
      - .offset:         48
        .size:           8
        .value_kind:     by_value
      - .address_space:  global
        .offset:         56
        .size:           8
        .value_kind:     global_buffer
      - .offset:         64
        .size:           8
        .value_kind:     by_value
      - .offset:         72
        .size:           4
        .value_kind:     by_value
      - .offset:         80
        .size:           8
        .value_kind:     by_value
      - .offset:         88
        .size:           8
        .value_kind:     by_value
      - .offset:         96
        .size:           4
        .value_kind:     by_value
    .group_segment_fixed_size: 8192
    .kernarg_segment_align: 8
    .kernarg_segment_size: 100
    .language:       OpenCL C
    .language_version:
      - 2
      - 0
    .max_flat_workgroup_size: 256
    .name:           _ZL29rocblas_trtri_diagonal_kernelILi16E19rocblas_complex_numIfEPKS1_PS1_Ev13rocblas_fill_17rocblas_diagonal_iT1_lillT2_lilli
    .private_segment_fixed_size: 0
    .sgpr_count:     42
    .sgpr_spill_count: 0
    .symbol:         _ZL29rocblas_trtri_diagonal_kernelILi16E19rocblas_complex_numIfEPKS1_PS1_Ev13rocblas_fill_17rocblas_diagonal_iT1_lillT2_lilli.kd
    .uniform_work_group_size: 1
    .uses_dynamic_stack: false
    .vgpr_count:     17
    .vgpr_spill_count: 0
    .wavefront_size: 32
    .workgroup_processor_mode: 1
  - .args:
      - .offset:         0
        .size:           4
        .value_kind:     by_value
      - .offset:         4
        .size:           4
        .value_kind:     by_value
      - .offset:         8
        .size:           4
        .value_kind:     by_value
      - .address_space:  global
        .offset:         16
        .size:           8
        .value_kind:     global_buffer
      - .offset:         24
        .size:           8
        .value_kind:     by_value
      - .offset:         32
        .size:           4
        .value_kind:     by_value
      - .offset:         40
        .size:           8
        .value_kind:     by_value
      - .offset:         48
        .size:           8
        .value_kind:     by_value
      - .address_space:  global
        .offset:         56
        .size:           8
        .value_kind:     global_buffer
      - .offset:         64
        .size:           8
        .value_kind:     by_value
      - .offset:         72
        .size:           4
        .value_kind:     by_value
      - .offset:         80
        .size:           8
        .value_kind:     by_value
      - .offset:         88
        .size:           8
        .value_kind:     by_value
      - .offset:         96
        .size:           4
        .value_kind:     by_value
    .group_segment_fixed_size: 8192
    .kernarg_segment_align: 8
    .kernarg_segment_size: 100
    .language:       OpenCL C
    .language_version:
      - 2
      - 0
    .max_flat_workgroup_size: 1024
    .name:           _ZL30rocblas_trtri_remainder_kernelILi16E19rocblas_complex_numIfEPKS1_PS1_Ev13rocblas_fill_17rocblas_diagonal_iT1_lillT2_lilli
    .private_segment_fixed_size: 0
    .sgpr_count:     33
    .sgpr_spill_count: 0
    .symbol:         _ZL30rocblas_trtri_remainder_kernelILi16E19rocblas_complex_numIfEPKS1_PS1_Ev13rocblas_fill_17rocblas_diagonal_iT1_lillT2_lilli.kd
    .uniform_work_group_size: 1
    .uses_dynamic_stack: false
    .vgpr_count:     13
    .vgpr_spill_count: 0
    .wavefront_size: 32
    .workgroup_processor_mode: 1
  - .args:
      - .address_space:  global
        .offset:         0
        .size:           8
        .value_kind:     global_buffer
      - .offset:         8
        .size:           4
        .value_kind:     by_value
      - .offset:         12
        .size:           4
        .value_kind:     by_value
      - .offset:         16
        .size:           8
        .value_kind:     by_value
      - .offset:         24
        .size:           4
        .value_kind:     by_value
      - .offset:         32
        .size:           8
        .value_kind:     by_value
      - .address_space:  global
        .offset:         40
        .size:           8
        .value_kind:     global_buffer
      - .offset:         48
        .size:           8
        .value_kind:     by_value
      - .offset:         56
        .size:           8
        .value_kind:     by_value
      - .offset:         64
        .size:           4
        .value_kind:     by_value
      - .offset:         68
        .size:           4
        .value_kind:     by_value
      - .offset:         72
        .size:           4
        .value_kind:     hidden_block_count_x
      - .offset:         76
        .size:           4
        .value_kind:     hidden_block_count_y
      - .offset:         80
        .size:           4
        .value_kind:     hidden_block_count_z
      - .offset:         84
        .size:           2
        .value_kind:     hidden_group_size_x
      - .offset:         86
        .size:           2
        .value_kind:     hidden_group_size_y
      - .offset:         88
        .size:           2
        .value_kind:     hidden_group_size_z
      - .offset:         90
        .size:           2
        .value_kind:     hidden_remainder_x
      - .offset:         92
        .size:           2
        .value_kind:     hidden_remainder_y
      - .offset:         94
        .size:           2
        .value_kind:     hidden_remainder_z
      - .offset:         112
        .size:           8
        .value_kind:     hidden_global_offset_x
      - .offset:         120
        .size:           8
        .value_kind:     hidden_global_offset_y
      - .offset:         128
        .size:           8
        .value_kind:     hidden_global_offset_z
      - .offset:         136
        .size:           2
        .value_kind:     hidden_grid_dims
    .group_segment_fixed_size: 0
    .kernarg_segment_align: 8
    .kernarg_segment_size: 328
    .language:       OpenCL C
    .language_version:
      - 2
      - 0
    .max_flat_workgroup_size: 128
    .name:           _ZL18rocblas_trtri_fillILi128E19rocblas_complex_numIdEPS1_EvP15_rocblas_handle13rocblas_fill_ililT1_llii
    .private_segment_fixed_size: 0
    .sgpr_count:     33
    .sgpr_spill_count: 0
    .symbol:         _ZL18rocblas_trtri_fillILi128E19rocblas_complex_numIdEPS1_EvP15_rocblas_handle13rocblas_fill_ililT1_llii.kd
    .uniform_work_group_size: 1
    .uses_dynamic_stack: false
    .vgpr_count:     26
    .vgpr_spill_count: 0
    .wavefront_size: 32
    .workgroup_processor_mode: 1
  - .args:
      - .offset:         0
        .size:           4
        .value_kind:     by_value
      - .offset:         4
        .size:           4
        .value_kind:     by_value
      - .offset:         8
        .size:           4
        .value_kind:     by_value
      - .address_space:  global
        .offset:         16
        .size:           8
        .value_kind:     global_buffer
      - .offset:         24
        .size:           8
        .value_kind:     by_value
      - .offset:         32
        .size:           4
        .value_kind:     by_value
      - .offset:         40
        .size:           8
        .value_kind:     by_value
      - .offset:         48
        .size:           8
        .value_kind:     by_value
      - .address_space:  global
        .offset:         56
        .size:           8
        .value_kind:     global_buffer
      - .offset:         64
        .size:           8
        .value_kind:     by_value
      - .offset:         72
        .size:           4
        .value_kind:     by_value
      - .offset:         80
        .size:           8
        .value_kind:     by_value
      - .offset:         88
        .size:           8
        .value_kind:     by_value
      - .offset:         96
        .size:           4
        .value_kind:     by_value
    .group_segment_fixed_size: 4096
    .kernarg_segment_align: 8
    .kernarg_segment_size: 100
    .language:       OpenCL C
    .language_version:
      - 2
      - 0
    .max_flat_workgroup_size: 16
    .name:           _ZL26rocblas_trtri_small_kernelILi16E19rocblas_complex_numIdEPKS1_PS1_Ev13rocblas_fill_17rocblas_diagonal_iT1_lillT2_lilli
    .private_segment_fixed_size: 0
    .sgpr_count:     33
    .sgpr_spill_count: 0
    .symbol:         _ZL26rocblas_trtri_small_kernelILi16E19rocblas_complex_numIdEPKS1_PS1_Ev13rocblas_fill_17rocblas_diagonal_iT1_lillT2_lilli.kd
    .uniform_work_group_size: 1
    .uses_dynamic_stack: false
    .vgpr_count:     20
    .vgpr_spill_count: 0
    .wavefront_size: 32
    .workgroup_processor_mode: 1
  - .args:
      - .offset:         0
        .size:           4
        .value_kind:     by_value
      - .offset:         4
        .size:           4
        .value_kind:     by_value
      - .offset:         8
        .size:           4
        .value_kind:     by_value
      - .address_space:  global
        .offset:         16
        .size:           8
        .value_kind:     global_buffer
      - .offset:         24
        .size:           8
        .value_kind:     by_value
      - .offset:         32
        .size:           4
        .value_kind:     by_value
      - .offset:         40
        .size:           8
        .value_kind:     by_value
      - .offset:         48
        .size:           8
        .value_kind:     by_value
      - .address_space:  global
        .offset:         56
        .size:           8
        .value_kind:     global_buffer
      - .offset:         64
        .size:           8
        .value_kind:     by_value
      - .offset:         72
        .size:           4
        .value_kind:     by_value
      - .offset:         80
        .size:           8
        .value_kind:     by_value
      - .offset:         88
        .size:           8
        .value_kind:     by_value
      - .offset:         96
        .size:           4
        .value_kind:     by_value
    .group_segment_fixed_size: 16384
    .kernarg_segment_align: 8
    .kernarg_segment_size: 100
    .language:       OpenCL C
    .language_version:
      - 2
      - 0
    .max_flat_workgroup_size: 256
    .name:           _ZL29rocblas_trtri_diagonal_kernelILi16E19rocblas_complex_numIdEPKS1_PS1_Ev13rocblas_fill_17rocblas_diagonal_iT1_lillT2_lilli
    .private_segment_fixed_size: 0
    .sgpr_count:     42
    .sgpr_spill_count: 0
    .symbol:         _ZL29rocblas_trtri_diagonal_kernelILi16E19rocblas_complex_numIdEPKS1_PS1_Ev13rocblas_fill_17rocblas_diagonal_iT1_lillT2_lilli.kd
    .uniform_work_group_size: 1
    .uses_dynamic_stack: false
    .vgpr_count:     24
    .vgpr_spill_count: 0
    .wavefront_size: 32
    .workgroup_processor_mode: 1
  - .args:
      - .offset:         0
        .size:           4
        .value_kind:     by_value
      - .offset:         4
        .size:           4
        .value_kind:     by_value
      - .offset:         8
        .size:           4
        .value_kind:     by_value
      - .address_space:  global
        .offset:         16
        .size:           8
        .value_kind:     global_buffer
      - .offset:         24
        .size:           8
        .value_kind:     by_value
      - .offset:         32
        .size:           4
        .value_kind:     by_value
      - .offset:         40
        .size:           8
        .value_kind:     by_value
      - .offset:         48
        .size:           8
        .value_kind:     by_value
      - .address_space:  global
        .offset:         56
        .size:           8
        .value_kind:     global_buffer
      - .offset:         64
        .size:           8
        .value_kind:     by_value
      - .offset:         72
        .size:           4
        .value_kind:     by_value
      - .offset:         80
        .size:           8
        .value_kind:     by_value
      - .offset:         88
        .size:           8
        .value_kind:     by_value
      - .offset:         96
        .size:           4
        .value_kind:     by_value
    .group_segment_fixed_size: 16384
    .kernarg_segment_align: 8
    .kernarg_segment_size: 100
    .language:       OpenCL C
    .language_version:
      - 2
      - 0
    .max_flat_workgroup_size: 1024
    .name:           _ZL30rocblas_trtri_remainder_kernelILi16E19rocblas_complex_numIdEPKS1_PS1_Ev13rocblas_fill_17rocblas_diagonal_iT1_lillT2_lilli
    .private_segment_fixed_size: 0
    .sgpr_count:     33
    .sgpr_spill_count: 0
    .symbol:         _ZL30rocblas_trtri_remainder_kernelILi16E19rocblas_complex_numIdEPKS1_PS1_Ev13rocblas_fill_17rocblas_diagonal_iT1_lillT2_lilli.kd
    .uniform_work_group_size: 1
    .uses_dynamic_stack: false
    .vgpr_count:     20
    .vgpr_spill_count: 0
    .wavefront_size: 32
    .workgroup_processor_mode: 1
  - .args:
      - .address_space:  global
        .offset:         0
        .size:           8
        .value_kind:     global_buffer
      - .offset:         8
        .size:           4
        .value_kind:     by_value
      - .offset:         12
        .size:           4
        .value_kind:     by_value
      - .offset:         16
        .size:           8
        .value_kind:     by_value
      - .offset:         24
        .size:           4
        .value_kind:     by_value
      - .offset:         32
        .size:           8
        .value_kind:     by_value
      - .address_space:  global
        .offset:         40
        .size:           8
        .value_kind:     global_buffer
      - .offset:         48
        .size:           8
        .value_kind:     by_value
      - .offset:         56
        .size:           8
        .value_kind:     by_value
      - .offset:         64
        .size:           4
        .value_kind:     by_value
      - .offset:         68
        .size:           4
        .value_kind:     by_value
      - .offset:         72
        .size:           4
        .value_kind:     hidden_block_count_x
      - .offset:         76
        .size:           4
        .value_kind:     hidden_block_count_y
      - .offset:         80
        .size:           4
        .value_kind:     hidden_block_count_z
      - .offset:         84
        .size:           2
        .value_kind:     hidden_group_size_x
      - .offset:         86
        .size:           2
        .value_kind:     hidden_group_size_y
      - .offset:         88
        .size:           2
        .value_kind:     hidden_group_size_z
      - .offset:         90
        .size:           2
        .value_kind:     hidden_remainder_x
      - .offset:         92
        .size:           2
        .value_kind:     hidden_remainder_y
      - .offset:         94
        .size:           2
        .value_kind:     hidden_remainder_z
      - .offset:         112
        .size:           8
        .value_kind:     hidden_global_offset_x
      - .offset:         120
        .size:           8
        .value_kind:     hidden_global_offset_y
      - .offset:         128
        .size:           8
        .value_kind:     hidden_global_offset_z
      - .offset:         136
        .size:           2
        .value_kind:     hidden_grid_dims
    .group_segment_fixed_size: 0
    .kernarg_segment_align: 8
    .kernarg_segment_size: 328
    .language:       OpenCL C
    .language_version:
      - 2
      - 0
    .max_flat_workgroup_size: 128
    .name:           _ZL18rocblas_trtri_fillILi128EfPKPfEvP15_rocblas_handle13rocblas_fill_ililT1_llii
    .private_segment_fixed_size: 0
    .sgpr_count:     33
    .sgpr_spill_count: 0
    .symbol:         _ZL18rocblas_trtri_fillILi128EfPKPfEvP15_rocblas_handle13rocblas_fill_ililT1_llii.kd
    .uniform_work_group_size: 1
    .uses_dynamic_stack: false
    .vgpr_count:     26
    .vgpr_spill_count: 0
    .wavefront_size: 32
    .workgroup_processor_mode: 1
  - .args:
      - .offset:         0
        .size:           4
        .value_kind:     by_value
      - .offset:         4
        .size:           4
        .value_kind:     by_value
      - .offset:         8
        .size:           4
        .value_kind:     by_value
      - .address_space:  global
        .offset:         16
        .size:           8
        .value_kind:     global_buffer
      - .offset:         24
        .size:           8
        .value_kind:     by_value
      - .offset:         32
        .size:           4
        .value_kind:     by_value
      - .offset:         40
        .size:           8
        .value_kind:     by_value
      - .offset:         48
        .size:           8
        .value_kind:     by_value
      - .address_space:  global
        .offset:         56
        .size:           8
        .value_kind:     global_buffer
      - .offset:         64
        .size:           8
        .value_kind:     by_value
      - .offset:         72
        .size:           4
        .value_kind:     by_value
      - .offset:         80
        .size:           8
        .value_kind:     by_value
      - .offset:         88
        .size:           8
        .value_kind:     by_value
      - .offset:         96
        .size:           4
        .value_kind:     by_value
    .group_segment_fixed_size: 1024
    .kernarg_segment_align: 8
    .kernarg_segment_size: 100
    .language:       OpenCL C
    .language_version:
      - 2
      - 0
    .max_flat_workgroup_size: 16
    .name:           _ZL26rocblas_trtri_small_kernelILi16EfPKPKfPKPfEv13rocblas_fill_17rocblas_diagonal_iT1_lillT2_lilli
    .private_segment_fixed_size: 0
    .sgpr_count:     30
    .sgpr_spill_count: 0
    .symbol:         _ZL26rocblas_trtri_small_kernelILi16EfPKPKfPKPfEv13rocblas_fill_17rocblas_diagonal_iT1_lillT2_lilli.kd
    .uniform_work_group_size: 1
    .uses_dynamic_stack: false
    .vgpr_count:     9
    .vgpr_spill_count: 0
    .wavefront_size: 32
    .workgroup_processor_mode: 1
  - .args:
      - .offset:         0
        .size:           4
        .value_kind:     by_value
      - .offset:         4
        .size:           4
        .value_kind:     by_value
      - .offset:         8
        .size:           4
        .value_kind:     by_value
      - .address_space:  global
        .offset:         16
        .size:           8
        .value_kind:     global_buffer
      - .offset:         24
        .size:           8
        .value_kind:     by_value
      - .offset:         32
        .size:           4
        .value_kind:     by_value
      - .offset:         40
        .size:           8
        .value_kind:     by_value
      - .offset:         48
        .size:           8
        .value_kind:     by_value
      - .address_space:  global
        .offset:         56
        .size:           8
        .value_kind:     global_buffer
      - .offset:         64
        .size:           8
        .value_kind:     by_value
      - .offset:         72
        .size:           4
        .value_kind:     by_value
      - .offset:         80
        .size:           8
        .value_kind:     by_value
      - .offset:         88
        .size:           8
        .value_kind:     by_value
      - .offset:         96
        .size:           4
        .value_kind:     by_value
    .group_segment_fixed_size: 4096
    .kernarg_segment_align: 8
    .kernarg_segment_size: 100
    .language:       OpenCL C
    .language_version:
      - 2
      - 0
    .max_flat_workgroup_size: 256
    .name:           _ZL29rocblas_trtri_diagonal_kernelILi16EfPKPKfPKPfEv13rocblas_fill_17rocblas_diagonal_iT1_lillT2_lilli
    .private_segment_fixed_size: 0
    .sgpr_count:     39
    .sgpr_spill_count: 0
    .symbol:         _ZL29rocblas_trtri_diagonal_kernelILi16EfPKPKfPKPfEv13rocblas_fill_17rocblas_diagonal_iT1_lillT2_lilli.kd
    .uniform_work_group_size: 1
    .uses_dynamic_stack: false
    .vgpr_count:     13
    .vgpr_spill_count: 0
    .wavefront_size: 32
    .workgroup_processor_mode: 1
  - .args:
      - .offset:         0
        .size:           4
        .value_kind:     by_value
      - .offset:         4
        .size:           4
        .value_kind:     by_value
      - .offset:         8
        .size:           4
        .value_kind:     by_value
      - .address_space:  global
        .offset:         16
        .size:           8
        .value_kind:     global_buffer
      - .offset:         24
        .size:           8
        .value_kind:     by_value
      - .offset:         32
        .size:           4
        .value_kind:     by_value
      - .offset:         40
        .size:           8
        .value_kind:     by_value
      - .offset:         48
        .size:           8
        .value_kind:     by_value
      - .address_space:  global
        .offset:         56
        .size:           8
        .value_kind:     global_buffer
      - .offset:         64
        .size:           8
        .value_kind:     by_value
      - .offset:         72
        .size:           4
        .value_kind:     by_value
      - .offset:         80
        .size:           8
        .value_kind:     by_value
      - .offset:         88
        .size:           8
        .value_kind:     by_value
      - .offset:         96
        .size:           4
        .value_kind:     by_value
    .group_segment_fixed_size: 4096
    .kernarg_segment_align: 8
    .kernarg_segment_size: 100
    .language:       OpenCL C
    .language_version:
      - 2
      - 0
    .max_flat_workgroup_size: 1024
    .name:           _ZL30rocblas_trtri_remainder_kernelILi16EfPKPKfPKPfEv13rocblas_fill_17rocblas_diagonal_iT1_lillT2_lilli
    .private_segment_fixed_size: 0
    .sgpr_count:     30
    .sgpr_spill_count: 0
    .symbol:         _ZL30rocblas_trtri_remainder_kernelILi16EfPKPKfPKPfEv13rocblas_fill_17rocblas_diagonal_iT1_lillT2_lilli.kd
    .uniform_work_group_size: 1
    .uses_dynamic_stack: false
    .vgpr_count:     9
    .vgpr_spill_count: 0
    .wavefront_size: 32
    .workgroup_processor_mode: 1
  - .args:
      - .address_space:  global
        .offset:         0
        .size:           8
        .value_kind:     global_buffer
      - .offset:         8
        .size:           4
        .value_kind:     by_value
      - .offset:         12
        .size:           4
        .value_kind:     by_value
      - .offset:         16
        .size:           8
        .value_kind:     by_value
      - .offset:         24
        .size:           4
        .value_kind:     by_value
      - .offset:         32
        .size:           8
        .value_kind:     by_value
      - .address_space:  global
        .offset:         40
        .size:           8
        .value_kind:     global_buffer
      - .offset:         48
        .size:           8
        .value_kind:     by_value
      - .offset:         56
        .size:           8
        .value_kind:     by_value
      - .offset:         64
        .size:           4
        .value_kind:     by_value
      - .offset:         68
        .size:           4
        .value_kind:     by_value
      - .offset:         72
        .size:           4
        .value_kind:     hidden_block_count_x
      - .offset:         76
        .size:           4
        .value_kind:     hidden_block_count_y
      - .offset:         80
        .size:           4
        .value_kind:     hidden_block_count_z
      - .offset:         84
        .size:           2
        .value_kind:     hidden_group_size_x
      - .offset:         86
        .size:           2
        .value_kind:     hidden_group_size_y
      - .offset:         88
        .size:           2
        .value_kind:     hidden_group_size_z
      - .offset:         90
        .size:           2
        .value_kind:     hidden_remainder_x
      - .offset:         92
        .size:           2
        .value_kind:     hidden_remainder_y
      - .offset:         94
        .size:           2
        .value_kind:     hidden_remainder_z
      - .offset:         112
        .size:           8
        .value_kind:     hidden_global_offset_x
      - .offset:         120
        .size:           8
        .value_kind:     hidden_global_offset_y
      - .offset:         128
        .size:           8
        .value_kind:     hidden_global_offset_z
      - .offset:         136
        .size:           2
        .value_kind:     hidden_grid_dims
    .group_segment_fixed_size: 0
    .kernarg_segment_align: 8
    .kernarg_segment_size: 328
    .language:       OpenCL C
    .language_version:
      - 2
      - 0
    .max_flat_workgroup_size: 128
    .name:           _ZL18rocblas_trtri_fillILi128EdPKPdEvP15_rocblas_handle13rocblas_fill_ililT1_llii
    .private_segment_fixed_size: 0
    .sgpr_count:     33
    .sgpr_spill_count: 0
    .symbol:         _ZL18rocblas_trtri_fillILi128EdPKPdEvP15_rocblas_handle13rocblas_fill_ililT1_llii.kd
    .uniform_work_group_size: 1
    .uses_dynamic_stack: false
    .vgpr_count:     26
    .vgpr_spill_count: 0
    .wavefront_size: 32
    .workgroup_processor_mode: 1
  - .args:
      - .offset:         0
        .size:           4
        .value_kind:     by_value
      - .offset:         4
        .size:           4
        .value_kind:     by_value
      - .offset:         8
        .size:           4
        .value_kind:     by_value
      - .address_space:  global
        .offset:         16
        .size:           8
        .value_kind:     global_buffer
      - .offset:         24
        .size:           8
        .value_kind:     by_value
      - .offset:         32
        .size:           4
        .value_kind:     by_value
      - .offset:         40
        .size:           8
        .value_kind:     by_value
      - .offset:         48
        .size:           8
        .value_kind:     by_value
      - .address_space:  global
        .offset:         56
        .size:           8
        .value_kind:     global_buffer
      - .offset:         64
        .size:           8
        .value_kind:     by_value
      - .offset:         72
        .size:           4
        .value_kind:     by_value
      - .offset:         80
        .size:           8
        .value_kind:     by_value
      - .offset:         88
        .size:           8
        .value_kind:     by_value
      - .offset:         96
        .size:           4
        .value_kind:     by_value
    .group_segment_fixed_size: 2048
    .kernarg_segment_align: 8
    .kernarg_segment_size: 100
    .language:       OpenCL C
    .language_version:
      - 2
      - 0
    .max_flat_workgroup_size: 16
    .name:           _ZL26rocblas_trtri_small_kernelILi16EdPKPKdPKPdEv13rocblas_fill_17rocblas_diagonal_iT1_lillT2_lilli
    .private_segment_fixed_size: 0
    .sgpr_count:     30
    .sgpr_spill_count: 0
    .symbol:         _ZL26rocblas_trtri_small_kernelILi16EdPKPKdPKPdEv13rocblas_fill_17rocblas_diagonal_iT1_lillT2_lilli.kd
    .uniform_work_group_size: 1
    .uses_dynamic_stack: false
    .vgpr_count:     13
    .vgpr_spill_count: 0
    .wavefront_size: 32
    .workgroup_processor_mode: 1
  - .args:
      - .offset:         0
        .size:           4
        .value_kind:     by_value
      - .offset:         4
        .size:           4
        .value_kind:     by_value
      - .offset:         8
        .size:           4
        .value_kind:     by_value
      - .address_space:  global
        .offset:         16
        .size:           8
        .value_kind:     global_buffer
      - .offset:         24
        .size:           8
        .value_kind:     by_value
      - .offset:         32
        .size:           4
        .value_kind:     by_value
      - .offset:         40
        .size:           8
        .value_kind:     by_value
      - .offset:         48
        .size:           8
        .value_kind:     by_value
      - .address_space:  global
        .offset:         56
        .size:           8
        .value_kind:     global_buffer
      - .offset:         64
        .size:           8
        .value_kind:     by_value
      - .offset:         72
        .size:           4
        .value_kind:     by_value
      - .offset:         80
        .size:           8
        .value_kind:     by_value
      - .offset:         88
        .size:           8
        .value_kind:     by_value
      - .offset:         96
        .size:           4
        .value_kind:     by_value
    .group_segment_fixed_size: 8192
    .kernarg_segment_align: 8
    .kernarg_segment_size: 100
    .language:       OpenCL C
    .language_version:
      - 2
      - 0
    .max_flat_workgroup_size: 256
    .name:           _ZL29rocblas_trtri_diagonal_kernelILi16EdPKPKdPKPdEv13rocblas_fill_17rocblas_diagonal_iT1_lillT2_lilli
    .private_segment_fixed_size: 0
    .sgpr_count:     39
    .sgpr_spill_count: 0
    .symbol:         _ZL29rocblas_trtri_diagonal_kernelILi16EdPKPKdPKPdEv13rocblas_fill_17rocblas_diagonal_iT1_lillT2_lilli.kd
    .uniform_work_group_size: 1
    .uses_dynamic_stack: false
    .vgpr_count:     16
    .vgpr_spill_count: 0
    .wavefront_size: 32
    .workgroup_processor_mode: 1
  - .args:
      - .offset:         0
        .size:           4
        .value_kind:     by_value
      - .offset:         4
        .size:           4
        .value_kind:     by_value
      - .offset:         8
        .size:           4
        .value_kind:     by_value
      - .address_space:  global
        .offset:         16
        .size:           8
        .value_kind:     global_buffer
      - .offset:         24
        .size:           8
        .value_kind:     by_value
      - .offset:         32
        .size:           4
        .value_kind:     by_value
      - .offset:         40
        .size:           8
        .value_kind:     by_value
      - .offset:         48
        .size:           8
        .value_kind:     by_value
      - .address_space:  global
        .offset:         56
        .size:           8
        .value_kind:     global_buffer
      - .offset:         64
        .size:           8
        .value_kind:     by_value
      - .offset:         72
        .size:           4
        .value_kind:     by_value
      - .offset:         80
        .size:           8
        .value_kind:     by_value
      - .offset:         88
        .size:           8
        .value_kind:     by_value
      - .offset:         96
        .size:           4
        .value_kind:     by_value
    .group_segment_fixed_size: 8192
    .kernarg_segment_align: 8
    .kernarg_segment_size: 100
    .language:       OpenCL C
    .language_version:
      - 2
      - 0
    .max_flat_workgroup_size: 1024
    .name:           _ZL30rocblas_trtri_remainder_kernelILi16EdPKPKdPKPdEv13rocblas_fill_17rocblas_diagonal_iT1_lillT2_lilli
    .private_segment_fixed_size: 0
    .sgpr_count:     30
    .sgpr_spill_count: 0
    .symbol:         _ZL30rocblas_trtri_remainder_kernelILi16EdPKPKdPKPdEv13rocblas_fill_17rocblas_diagonal_iT1_lillT2_lilli.kd
    .uniform_work_group_size: 1
    .uses_dynamic_stack: false
    .vgpr_count:     13
    .vgpr_spill_count: 0
    .wavefront_size: 32
    .workgroup_processor_mode: 1
  - .args:
      - .address_space:  global
        .offset:         0
        .size:           8
        .value_kind:     global_buffer
      - .offset:         8
        .size:           4
        .value_kind:     by_value
      - .offset:         12
        .size:           4
        .value_kind:     by_value
      - .offset:         16
        .size:           8
        .value_kind:     by_value
      - .offset:         24
        .size:           4
        .value_kind:     by_value
      - .offset:         32
        .size:           8
        .value_kind:     by_value
      - .address_space:  global
        .offset:         40
        .size:           8
        .value_kind:     global_buffer
      - .offset:         48
        .size:           8
        .value_kind:     by_value
      - .offset:         56
        .size:           8
        .value_kind:     by_value
      - .offset:         64
        .size:           4
        .value_kind:     by_value
      - .offset:         68
        .size:           4
        .value_kind:     by_value
      - .offset:         72
        .size:           4
        .value_kind:     hidden_block_count_x
      - .offset:         76
        .size:           4
        .value_kind:     hidden_block_count_y
      - .offset:         80
        .size:           4
        .value_kind:     hidden_block_count_z
      - .offset:         84
        .size:           2
        .value_kind:     hidden_group_size_x
      - .offset:         86
        .size:           2
        .value_kind:     hidden_group_size_y
      - .offset:         88
        .size:           2
        .value_kind:     hidden_group_size_z
      - .offset:         90
        .size:           2
        .value_kind:     hidden_remainder_x
      - .offset:         92
        .size:           2
        .value_kind:     hidden_remainder_y
      - .offset:         94
        .size:           2
        .value_kind:     hidden_remainder_z
      - .offset:         112
        .size:           8
        .value_kind:     hidden_global_offset_x
      - .offset:         120
        .size:           8
        .value_kind:     hidden_global_offset_y
      - .offset:         128
        .size:           8
        .value_kind:     hidden_global_offset_z
      - .offset:         136
        .size:           2
        .value_kind:     hidden_grid_dims
    .group_segment_fixed_size: 0
    .kernarg_segment_align: 8
    .kernarg_segment_size: 328
    .language:       OpenCL C
    .language_version:
      - 2
      - 0
    .max_flat_workgroup_size: 128
    .name:           _ZL18rocblas_trtri_fillILi128E19rocblas_complex_numIfEPKPS1_EvP15_rocblas_handle13rocblas_fill_ililT1_llii
    .private_segment_fixed_size: 0
    .sgpr_count:     33
    .sgpr_spill_count: 0
    .symbol:         _ZL18rocblas_trtri_fillILi128E19rocblas_complex_numIfEPKPS1_EvP15_rocblas_handle13rocblas_fill_ililT1_llii.kd
    .uniform_work_group_size: 1
    .uses_dynamic_stack: false
    .vgpr_count:     26
    .vgpr_spill_count: 0
    .wavefront_size: 32
    .workgroup_processor_mode: 1
  - .args:
      - .offset:         0
        .size:           4
        .value_kind:     by_value
      - .offset:         4
        .size:           4
        .value_kind:     by_value
      - .offset:         8
        .size:           4
        .value_kind:     by_value
      - .address_space:  global
        .offset:         16
        .size:           8
        .value_kind:     global_buffer
      - .offset:         24
        .size:           8
        .value_kind:     by_value
      - .offset:         32
        .size:           4
        .value_kind:     by_value
      - .offset:         40
        .size:           8
        .value_kind:     by_value
      - .offset:         48
        .size:           8
        .value_kind:     by_value
      - .address_space:  global
        .offset:         56
        .size:           8
        .value_kind:     global_buffer
      - .offset:         64
        .size:           8
        .value_kind:     by_value
      - .offset:         72
        .size:           4
        .value_kind:     by_value
      - .offset:         80
        .size:           8
        .value_kind:     by_value
      - .offset:         88
        .size:           8
        .value_kind:     by_value
      - .offset:         96
        .size:           4
        .value_kind:     by_value
    .group_segment_fixed_size: 2048
    .kernarg_segment_align: 8
    .kernarg_segment_size: 100
    .language:       OpenCL C
    .language_version:
      - 2
      - 0
    .max_flat_workgroup_size: 16
    .name:           _ZL26rocblas_trtri_small_kernelILi16E19rocblas_complex_numIfEPKPKS1_PKPS1_Ev13rocblas_fill_17rocblas_diagonal_iT1_lillT2_lilli
    .private_segment_fixed_size: 0
    .sgpr_count:     30
    .sgpr_spill_count: 0
    .symbol:         _ZL26rocblas_trtri_small_kernelILi16E19rocblas_complex_numIfEPKPKS1_PKPS1_Ev13rocblas_fill_17rocblas_diagonal_iT1_lillT2_lilli.kd
    .uniform_work_group_size: 1
    .uses_dynamic_stack: false
    .vgpr_count:     13
    .vgpr_spill_count: 0
    .wavefront_size: 32
    .workgroup_processor_mode: 1
  - .args:
      - .offset:         0
        .size:           4
        .value_kind:     by_value
      - .offset:         4
        .size:           4
        .value_kind:     by_value
      - .offset:         8
        .size:           4
        .value_kind:     by_value
      - .address_space:  global
        .offset:         16
        .size:           8
        .value_kind:     global_buffer
      - .offset:         24
        .size:           8
        .value_kind:     by_value
      - .offset:         32
        .size:           4
        .value_kind:     by_value
      - .offset:         40
        .size:           8
        .value_kind:     by_value
      - .offset:         48
        .size:           8
        .value_kind:     by_value
      - .address_space:  global
        .offset:         56
        .size:           8
        .value_kind:     global_buffer
      - .offset:         64
        .size:           8
        .value_kind:     by_value
      - .offset:         72
        .size:           4
        .value_kind:     by_value
      - .offset:         80
        .size:           8
        .value_kind:     by_value
      - .offset:         88
        .size:           8
        .value_kind:     by_value
      - .offset:         96
        .size:           4
        .value_kind:     by_value
    .group_segment_fixed_size: 8192
    .kernarg_segment_align: 8
    .kernarg_segment_size: 100
    .language:       OpenCL C
    .language_version:
      - 2
      - 0
    .max_flat_workgroup_size: 256
    .name:           _ZL29rocblas_trtri_diagonal_kernelILi16E19rocblas_complex_numIfEPKPKS1_PKPS1_Ev13rocblas_fill_17rocblas_diagonal_iT1_lillT2_lilli
    .private_segment_fixed_size: 0
    .sgpr_count:     39
    .sgpr_spill_count: 0
    .symbol:         _ZL29rocblas_trtri_diagonal_kernelILi16E19rocblas_complex_numIfEPKPKS1_PKPS1_Ev13rocblas_fill_17rocblas_diagonal_iT1_lillT2_lilli.kd
    .uniform_work_group_size: 1
    .uses_dynamic_stack: false
    .vgpr_count:     17
    .vgpr_spill_count: 0
    .wavefront_size: 32
    .workgroup_processor_mode: 1
  - .args:
      - .offset:         0
        .size:           4
        .value_kind:     by_value
      - .offset:         4
        .size:           4
        .value_kind:     by_value
      - .offset:         8
        .size:           4
        .value_kind:     by_value
      - .address_space:  global
        .offset:         16
        .size:           8
        .value_kind:     global_buffer
      - .offset:         24
        .size:           8
        .value_kind:     by_value
      - .offset:         32
        .size:           4
        .value_kind:     by_value
      - .offset:         40
        .size:           8
        .value_kind:     by_value
      - .offset:         48
        .size:           8
        .value_kind:     by_value
      - .address_space:  global
        .offset:         56
        .size:           8
        .value_kind:     global_buffer
      - .offset:         64
        .size:           8
        .value_kind:     by_value
      - .offset:         72
        .size:           4
        .value_kind:     by_value
      - .offset:         80
        .size:           8
        .value_kind:     by_value
      - .offset:         88
        .size:           8
        .value_kind:     by_value
      - .offset:         96
        .size:           4
        .value_kind:     by_value
    .group_segment_fixed_size: 8192
    .kernarg_segment_align: 8
    .kernarg_segment_size: 100
    .language:       OpenCL C
    .language_version:
      - 2
      - 0
    .max_flat_workgroup_size: 1024
    .name:           _ZL30rocblas_trtri_remainder_kernelILi16E19rocblas_complex_numIfEPKPKS1_PKPS1_Ev13rocblas_fill_17rocblas_diagonal_iT1_lillT2_lilli
    .private_segment_fixed_size: 0
    .sgpr_count:     30
    .sgpr_spill_count: 0
    .symbol:         _ZL30rocblas_trtri_remainder_kernelILi16E19rocblas_complex_numIfEPKPKS1_PKPS1_Ev13rocblas_fill_17rocblas_diagonal_iT1_lillT2_lilli.kd
    .uniform_work_group_size: 1
    .uses_dynamic_stack: false
    .vgpr_count:     13
    .vgpr_spill_count: 0
    .wavefront_size: 32
    .workgroup_processor_mode: 1
  - .args:
      - .address_space:  global
        .offset:         0
        .size:           8
        .value_kind:     global_buffer
      - .offset:         8
        .size:           4
        .value_kind:     by_value
      - .offset:         12
        .size:           4
        .value_kind:     by_value
      - .offset:         16
        .size:           8
        .value_kind:     by_value
      - .offset:         24
        .size:           4
        .value_kind:     by_value
      - .offset:         32
        .size:           8
        .value_kind:     by_value
      - .address_space:  global
        .offset:         40
        .size:           8
        .value_kind:     global_buffer
      - .offset:         48
        .size:           8
        .value_kind:     by_value
      - .offset:         56
        .size:           8
        .value_kind:     by_value
      - .offset:         64
        .size:           4
        .value_kind:     by_value
      - .offset:         68
        .size:           4
        .value_kind:     by_value
      - .offset:         72
        .size:           4
        .value_kind:     hidden_block_count_x
      - .offset:         76
        .size:           4
        .value_kind:     hidden_block_count_y
      - .offset:         80
        .size:           4
        .value_kind:     hidden_block_count_z
      - .offset:         84
        .size:           2
        .value_kind:     hidden_group_size_x
      - .offset:         86
        .size:           2
        .value_kind:     hidden_group_size_y
      - .offset:         88
        .size:           2
        .value_kind:     hidden_group_size_z
      - .offset:         90
        .size:           2
        .value_kind:     hidden_remainder_x
      - .offset:         92
        .size:           2
        .value_kind:     hidden_remainder_y
      - .offset:         94
        .size:           2
        .value_kind:     hidden_remainder_z
      - .offset:         112
        .size:           8
        .value_kind:     hidden_global_offset_x
      - .offset:         120
        .size:           8
        .value_kind:     hidden_global_offset_y
      - .offset:         128
        .size:           8
        .value_kind:     hidden_global_offset_z
      - .offset:         136
        .size:           2
        .value_kind:     hidden_grid_dims
    .group_segment_fixed_size: 0
    .kernarg_segment_align: 8
    .kernarg_segment_size: 328
    .language:       OpenCL C
    .language_version:
      - 2
      - 0
    .max_flat_workgroup_size: 128
    .name:           _ZL18rocblas_trtri_fillILi128E19rocblas_complex_numIdEPKPS1_EvP15_rocblas_handle13rocblas_fill_ililT1_llii
    .private_segment_fixed_size: 0
    .sgpr_count:     33
    .sgpr_spill_count: 0
    .symbol:         _ZL18rocblas_trtri_fillILi128E19rocblas_complex_numIdEPKPS1_EvP15_rocblas_handle13rocblas_fill_ililT1_llii.kd
    .uniform_work_group_size: 1
    .uses_dynamic_stack: false
    .vgpr_count:     26
    .vgpr_spill_count: 0
    .wavefront_size: 32
    .workgroup_processor_mode: 1
  - .args:
      - .offset:         0
        .size:           4
        .value_kind:     by_value
      - .offset:         4
        .size:           4
        .value_kind:     by_value
      - .offset:         8
        .size:           4
        .value_kind:     by_value
      - .address_space:  global
        .offset:         16
        .size:           8
        .value_kind:     global_buffer
      - .offset:         24
        .size:           8
        .value_kind:     by_value
      - .offset:         32
        .size:           4
        .value_kind:     by_value
      - .offset:         40
        .size:           8
        .value_kind:     by_value
      - .offset:         48
        .size:           8
        .value_kind:     by_value
      - .address_space:  global
        .offset:         56
        .size:           8
        .value_kind:     global_buffer
      - .offset:         64
        .size:           8
        .value_kind:     by_value
      - .offset:         72
        .size:           4
        .value_kind:     by_value
      - .offset:         80
        .size:           8
        .value_kind:     by_value
      - .offset:         88
        .size:           8
        .value_kind:     by_value
      - .offset:         96
        .size:           4
        .value_kind:     by_value
    .group_segment_fixed_size: 4096
    .kernarg_segment_align: 8
    .kernarg_segment_size: 100
    .language:       OpenCL C
    .language_version:
      - 2
      - 0
    .max_flat_workgroup_size: 16
    .name:           _ZL26rocblas_trtri_small_kernelILi16E19rocblas_complex_numIdEPKPKS1_PKPS1_Ev13rocblas_fill_17rocblas_diagonal_iT1_lillT2_lilli
    .private_segment_fixed_size: 0
    .sgpr_count:     30
    .sgpr_spill_count: 0
    .symbol:         _ZL26rocblas_trtri_small_kernelILi16E19rocblas_complex_numIdEPKPKS1_PKPS1_Ev13rocblas_fill_17rocblas_diagonal_iT1_lillT2_lilli.kd
    .uniform_work_group_size: 1
    .uses_dynamic_stack: false
    .vgpr_count:     20
    .vgpr_spill_count: 0
    .wavefront_size: 32
    .workgroup_processor_mode: 1
  - .args:
      - .offset:         0
        .size:           4
        .value_kind:     by_value
      - .offset:         4
        .size:           4
        .value_kind:     by_value
      - .offset:         8
        .size:           4
        .value_kind:     by_value
      - .address_space:  global
        .offset:         16
        .size:           8
        .value_kind:     global_buffer
      - .offset:         24
        .size:           8
        .value_kind:     by_value
      - .offset:         32
        .size:           4
        .value_kind:     by_value
      - .offset:         40
        .size:           8
        .value_kind:     by_value
      - .offset:         48
        .size:           8
        .value_kind:     by_value
      - .address_space:  global
        .offset:         56
        .size:           8
        .value_kind:     global_buffer
      - .offset:         64
        .size:           8
        .value_kind:     by_value
      - .offset:         72
        .size:           4
        .value_kind:     by_value
      - .offset:         80
        .size:           8
        .value_kind:     by_value
      - .offset:         88
        .size:           8
        .value_kind:     by_value
      - .offset:         96
        .size:           4
        .value_kind:     by_value
    .group_segment_fixed_size: 16384
    .kernarg_segment_align: 8
    .kernarg_segment_size: 100
    .language:       OpenCL C
    .language_version:
      - 2
      - 0
    .max_flat_workgroup_size: 256
    .name:           _ZL29rocblas_trtri_diagonal_kernelILi16E19rocblas_complex_numIdEPKPKS1_PKPS1_Ev13rocblas_fill_17rocblas_diagonal_iT1_lillT2_lilli
    .private_segment_fixed_size: 0
    .sgpr_count:     39
    .sgpr_spill_count: 0
    .symbol:         _ZL29rocblas_trtri_diagonal_kernelILi16E19rocblas_complex_numIdEPKPKS1_PKPS1_Ev13rocblas_fill_17rocblas_diagonal_iT1_lillT2_lilli.kd
    .uniform_work_group_size: 1
    .uses_dynamic_stack: false
    .vgpr_count:     24
    .vgpr_spill_count: 0
    .wavefront_size: 32
    .workgroup_processor_mode: 1
  - .args:
      - .offset:         0
        .size:           4
        .value_kind:     by_value
      - .offset:         4
        .size:           4
        .value_kind:     by_value
      - .offset:         8
        .size:           4
        .value_kind:     by_value
      - .address_space:  global
        .offset:         16
        .size:           8
        .value_kind:     global_buffer
      - .offset:         24
        .size:           8
        .value_kind:     by_value
      - .offset:         32
        .size:           4
        .value_kind:     by_value
      - .offset:         40
        .size:           8
        .value_kind:     by_value
      - .offset:         48
        .size:           8
        .value_kind:     by_value
      - .address_space:  global
        .offset:         56
        .size:           8
        .value_kind:     global_buffer
      - .offset:         64
        .size:           8
        .value_kind:     by_value
      - .offset:         72
        .size:           4
        .value_kind:     by_value
      - .offset:         80
        .size:           8
        .value_kind:     by_value
      - .offset:         88
        .size:           8
        .value_kind:     by_value
      - .offset:         96
        .size:           4
        .value_kind:     by_value
    .group_segment_fixed_size: 16384
    .kernarg_segment_align: 8
    .kernarg_segment_size: 100
    .language:       OpenCL C
    .language_version:
      - 2
      - 0
    .max_flat_workgroup_size: 1024
    .name:           _ZL30rocblas_trtri_remainder_kernelILi16E19rocblas_complex_numIdEPKPKS1_PKPS1_Ev13rocblas_fill_17rocblas_diagonal_iT1_lillT2_lilli
    .private_segment_fixed_size: 0
    .sgpr_count:     30
    .sgpr_spill_count: 0
    .symbol:         _ZL30rocblas_trtri_remainder_kernelILi16E19rocblas_complex_numIdEPKPKS1_PKPS1_Ev13rocblas_fill_17rocblas_diagonal_iT1_lillT2_lilli.kd
    .uniform_work_group_size: 1
    .uses_dynamic_stack: false
    .vgpr_count:     20
    .vgpr_spill_count: 0
    .wavefront_size: 32
    .workgroup_processor_mode: 1
amdhsa.target:   amdgcn-amd-amdhsa--gfx1030
amdhsa.version:
  - 1
  - 2
...

	.end_amdgpu_metadata
